;; amdgpu-corpus repo=ROCm/Tensile kind=harvested arch=n/a opt=n/a

/******************************************/
/* Function Prefix                        */
/******************************************/



/******************************************/
/* Begin Kernel                           */
/******************************************/

// Component.Signature.SignatureDefault
.amdgcn_target "amdgcn-amd-amdhsa--gfx908"
.text
.protected Cijk_Ailk_Bjlk_I8II_BH_MT96x96x128_MI16x16x16x1_SE_1LDSB0_APM1_AF0EM8_AF1EM1_AMAS0_ASE_ASAE01_ASCE01_ASEM1_BL1_DTLA0_DTLB0_DVO0_EPS1_FL0_GLVWA16_GLVWB16_GRVW16_GSU1_GSUASB_ISA908_IU1_K1_KLA_LBSPPA0_LBSPPB0_LPA0_LPB0_LDL1_LRVW4_LDW0_FMA_MDA2_MMFGLC_NTC0_NTD0_NEPBS0_NLCA3_NLCB3_ONLL1_OPLV0_PK0_PAP0_PGR1_PLR1_SIA3_SS0_SU0_SUM0_SUS0_SPO0_SRVW0_SSO0_SVW4_SNLL0_TT3_48_TLDS0_UMLDSA0_UMLDSB0_USFGROn1_VAW1_VSn1_VW1_VWB1_WSGRA1_WSGRB1_WG32_8_1_WGM1
.globl Cijk_Ailk_Bjlk_I8II_BH_MT96x96x128_MI16x16x16x1_SE_1LDSB0_APM1_AF0EM8_AF1EM1_AMAS0_ASE_ASAE01_ASCE01_ASEM1_BL1_DTLA0_DTLB0_DVO0_EPS1_FL0_GLVWA16_GLVWB16_GRVW16_GSU1_GSUASB_ISA908_IU1_K1_KLA_LBSPPA0_LBSPPB0_LPA0_LPB0_LDL1_LRVW4_LDW0_FMA_MDA2_MMFGLC_NTC0_NTD0_NEPBS0_NLCA3_NLCB3_ONLL1_OPLV0_PK0_PAP0_PGR1_PLR1_SIA3_SS0_SU0_SUM0_SUS0_SPO0_SRVW0_SSO0_SVW4_SNLL0_TT3_48_TLDS0_UMLDSA0_UMLDSB0_USFGROn1_VAW1_VSn1_VW1_VWB1_WSGRA1_WSGRB1_WG32_8_1_WGM1
.p2align 8
.type Cijk_Ailk_Bjlk_I8II_BH_MT96x96x128_MI16x16x16x1_SE_1LDSB0_APM1_AF0EM8_AF1EM1_AMAS0_ASE_ASAE01_ASCE01_ASEM1_BL1_DTLA0_DTLB0_DVO0_EPS1_FL0_GLVWA16_GLVWB16_GRVW16_GSU1_GSUASB_ISA908_IU1_K1_KLA_LBSPPA0_LBSPPB0_LPA0_LPB0_LDL1_LRVW4_LDW0_FMA_MDA2_MMFGLC_NTC0_NTD0_NEPBS0_NLCA3_NLCB3_ONLL1_OPLV0_PK0_PAP0_PGR1_PLR1_SIA3_SS0_SU0_SUM0_SUS0_SPO0_SRVW0_SSO0_SVW4_SNLL0_TT3_48_TLDS0_UMLDSA0_UMLDSB0_USFGROn1_VAW1_VSn1_VW1_VWB1_WSGRA1_WSGRB1_WG32_8_1_WGM1,@function
.section .rodata,#alloc
.p2align 6
.amdhsa_kernel Cijk_Ailk_Bjlk_I8II_BH_MT96x96x128_MI16x16x16x1_SE_1LDSB0_APM1_AF0EM8_AF1EM1_AMAS0_ASE_ASAE01_ASCE01_ASEM1_BL1_DTLA0_DTLB0_DVO0_EPS1_FL0_GLVWA16_GLVWB16_GRVW16_GSU1_GSUASB_ISA908_IU1_K1_KLA_LBSPPA0_LBSPPB0_LPA0_LPB0_LDL1_LRVW4_LDW0_FMA_MDA2_MMFGLC_NTC0_NTD0_NEPBS0_NLCA3_NLCB3_ONLL1_OPLV0_PK0_PAP0_PGR1_PLR1_SIA3_SS0_SU0_SUM0_SUS0_SPO0_SRVW0_SSO0_SVW4_SNLL0_TT3_48_TLDS0_UMLDSA0_UMLDSB0_USFGROn1_VAW1_VSn1_VW1_VWB1_WSGRA1_WSGRB1_WG32_8_1_WGM1
  .amdhsa_user_sgpr_kernarg_segment_ptr 1
  .amdhsa_user_sgpr_count 2
  .amdhsa_next_free_vgpr 256 // vgprs
  .amdhsa_next_free_sgpr 58 // sgprs
  .amdhsa_group_segment_fixed_size 57344 // lds bytes
  .amdhsa_private_segment_fixed_size 0
  .amdhsa_system_sgpr_workgroup_id_x 1
  .amdhsa_system_sgpr_workgroup_id_y 1
  .amdhsa_system_sgpr_workgroup_id_z 1
  .amdhsa_system_vgpr_workitem_id 0
  .amdhsa_float_denorm_mode_32 3
  .amdhsa_float_denorm_mode_16_64 3
.end_amdhsa_kernel
.text

/******************************************/
/* Optimizations and Config:              */
/******************************************/
/* ThreadTile= 12 x 3 */
/* SubGroup= 8 x 32 */
/* VectorWidthA=1 */
/* VectorWidthB=1 */
/* GlobalLoadVectorWidthA=16, GlobalLoadVectorWidthB=16 */
/* DirectToLdsA=False */
/* DirectToLdsB=False */
/* UseSgprForGRO=False */
.amdgpu_metadata
---
amdhsa.version:
  - 1
  - 1
amdhsa.target: amdgcn-amd-amdhsa--gfx908
amdhsa.kernels:
  - .name: Cijk_Ailk_Bjlk_I8II_BH_MT96x96x128_MI16x16x16x1_SE_1LDSB0_APM1_AF0EM8_AF1EM1_AMAS0_ASE_ASAE01_ASCE01_ASEM1_BL1_DTLA0_DTLB0_DVO0_EPS1_FL0_GLVWA16_GLVWB16_GRVW16_GSU1_GSUASB_ISA908_IU1_K1_KLA_LBSPPA0_LBSPPB0_LPA0_LPB0_LDL1_LRVW4_LDW0_FMA_MDA2_MMFGLC_NTC0_NTD0_NEPBS0_NLCA3_NLCB3_ONLL1_OPLV0_PK0_PAP0_PGR1_PLR1_SIA3_SS0_SU0_SUM0_SUS0_SPO0_SRVW0_SSO0_SVW4_SNLL0_TT3_48_TLDS0_UMLDSA0_UMLDSB0_USFGROn1_VAW1_VSn1_VW1_VWB1_WSGRA1_WSGRB1_WG32_8_1_WGM1
    .symbol: 'Cijk_Ailk_Bjlk_I8II_BH_MT96x96x128_MI16x16x16x1_SE_1LDSB0_APM1_AF0EM8_AF1EM1_AMAS0_ASE_ASAE01_ASCE01_ASEM1_BL1_DTLA0_DTLB0_DVO0_EPS1_FL0_GLVWA16_GLVWB16_GRVW16_GSU1_GSUASB_ISA908_IU1_K1_KLA_LBSPPA0_LBSPPB0_LPA0_LPB0_LDL1_LRVW4_LDW0_FMA_MDA2_MMFGLC_NTC0_NTD0_NEPBS0_NLCA3_NLCB3_ONLL1_OPLV0_PK0_PAP0_PGR1_PLR1_SIA3_SS0_SU0_SUM0_SUS0_SPO0_SRVW0_SSO0_SVW4_SNLL0_TT3_48_TLDS0_UMLDSA0_UMLDSB0_USFGROn1_VAW1_VSn1_VW1_VWB1_WSGRA1_WSGRB1_WG32_8_1_WGM1.kd'
    .language:                   OpenCL C
    .language_version:
      - 2
      - 0
    .args:
      - .name:            Tensor2dSizeA
        .size:            8
        .offset:          0
        .value_kind:      by_value
        .value_type:      u64
      - .name:            Tensor2dSizeB
        .size:            8
        .offset:          8
        .value_kind:      by_value
        .value_type:      u64
      - .name:            AddressD
        .size:            8
        .offset:          16
        .value_kind:      by_value
        .value_type:      u64
      - .name:            AddressC
        .size:            8
        .offset:          24
        .value_kind:      by_value
        .value_type:      u64
      - .name:            AddressA
        .size:            8
        .offset:          32
        .value_kind:      by_value
        .value_type:      u64
      - .name:            AddressB
        .size:            8
        .offset:          40
        .value_kind:      by_value
        .value_type:      u64
      - .name:            Alpha
        .size:            4
        .offset:          48
        .value_kind:      by_value
        .value_type:      u32
      - .name:            Beta
        .size:            4
        .offset:          52
        .value_kind:      by_value
        .value_type:      u32
      - .name:            StridesD
        .size:            8
        .offset:          56
        .value_kind:      by_value
        .value_type:      u64
      - .name:            StridesC
        .size:            8
        .offset:          64
        .value_kind:      by_value
        .value_type:      u64
      - .name:            StridesA
        .size:            8
        .offset:          72
        .value_kind:      by_value
        .value_type:      u64
      - .name:            StridesB
        .size:            8
        .offset:          80
        .value_kind:      by_value
        .value_type:      u64
      - .name:            SizesFree
        .size:            12
        .offset:          88
        .value_kind:      by_value
        .value_type:      u96
      - .name:            SizesSum
        .size:            4
        .offset:          100
        .value_kind:      by_value
        .value_type:      u32
      - .name:            NumWorkGroups0
        .size:            4
        .offset:          104
        .value_kind:      by_value
        .value_type:      u32
      - .name:            NumWorkGroups1
        .size:            4
        .offset:          108
        .value_kind:      by_value
        .value_type:      u32
    .group_segment_fixed_size:   57344
    .kernarg_segment_align:      8
    .kernarg_segment_size:       112
    .max_flat_workgroup_size:    256
    .private_segment_fixed_size: 0
    .sgpr_count:                 58
    .sgpr_spill_count:           0
    .vgpr_count:                 256
    .vgpr_spill_count:           0
    .wavefront_size:             64
...
.end_amdgpu_metadata
Cijk_Ailk_Bjlk_I8II_BH_MT96x96x128_MI16x16x16x1_SE_1LDSB0_APM1_AF0EM8_AF1EM1_AMAS0_ASE_ASAE01_ASCE01_ASEM1_BL1_DTLA0_DTLB0_DVO0_EPS1_FL0_GLVWA16_GLVWB16_GRVW16_GSU1_GSUASB_ISA908_IU1_K1_KLA_LBSPPA0_LBSPPB0_LPA0_LPB0_LDL1_LRVW4_LDW0_FMA_MDA2_MMFGLC_NTC0_NTD0_NEPBS0_NLCA3_NLCB3_ONLL1_OPLV0_PK0_PAP0_PGR1_PLR1_SIA3_SS0_SU0_SUM0_SUS0_SPO0_SRVW0_SSO0_SVW4_SNLL0_TT3_48_TLDS0_UMLDSA0_UMLDSB0_USFGROn1_VAW1_VSn1_VW1_VWB1_WSGRA1_WSGRB1_WG32_8_1_WGM1:

/******************************************/
/* Asm syntax workarounds                 */
/******************************************/
.macro _v_add_co_u32 dst:req, cc:req, src0:req, src1:req, dpp=
   v_add_co_u32 \dst, \cc, \src0, \src1 \dpp
.endm

.macro _v_add_u32 dst:req, src0:req, src1:req, dpp=
   v_add_u32 \dst, \src0, \src1 \dpp
.endm

.macro _v_add_i32 dst:req, src0:req, src1:req, dpp=
   v_add_i32 \dst, \src0, \src1 \dpp
.endm

.macro _v_addc_co_u32 dst:req, ccOut:req, src0:req, ccIn:req, src1:req, dpp=
   v_addc_co_u32 \dst, \ccOut, \src0, \ccIn, \src1 \dpp
.endm

.macro _v_sub_co_u32 dst:req, cc:req, src0:req, src1:req, dpp=
   v_sub_co_u32 \dst, \cc, \src0, \src1 \dpp
.endm

.macro _v_sub_u32 dst:req, src0:req, src1:req, dpp=
   v_sub_u32 \dst, \src0, \src1 \dpp
.endm

.macro _v_sub_i32 dst:req, src0:req, src1:req, dpp=
   v_sub_i32 \dst, \src0, \src1 \dpp
.endm

.macro _v_add_lshl_u32 dst:req, src0:req, src1:req, shiftCnt:req
    v_add_lshl_u32 \dst, \src0, \src1, \shiftCnt
.endm

.macro _v_lshl_add_u32 dst:req, src0:req, src1:req, shiftCnt:req
    v_lshl_add_u32 \dst, \src0, \src1, \shiftCnt
.endm

.macro _v_lshl_or_b32 dst:req, src0:req, shiftCnt:req, src1:req
    v_lshl_or_b32 \dst, \src0, \shiftCnt, \src1
.endm

.macro _v_dot2acc_f32_f16 dst, src0, src1
v_dot2c_f32_f16 \dst, \src0, \src1
.endm

.macro _v_cmpx_lt_i16 dst, src0, src1=
   v_cmpx_lt_i16 \dst, \src0, \src1 
.endm

.macro _v_cmpx_lt_i32 dst, src0, src1=
   v_cmpx_lt_i32 \dst, \src0, \src1 
.endm

.macro _v_cmpx_lt_i64 dst, src0, src1=
   v_cmpx_lt_i64 \dst, \src0, \src1 
.endm

.macro _v_cmpx_lt_u16 dst, src0, src1=
   v_cmpx_lt_u16 \dst, \src0, \src1 
.endm

.macro _v_cmpx_lt_u32 dst, src0, src1=
   v_cmpx_lt_u32 \dst, \src0, \src1 
.endm

.macro _v_cmpx_lt_u64 dst, src0, src1=
   v_cmpx_lt_u64 \dst, \src0, \src1 
.endm

.macro _v_cmpx_eq_i16 dst, src0, src1=
   v_cmpx_eq_i16 \dst, \src0, \src1 
.endm

.macro _v_cmpx_eq_i32 dst, src0, src1=
   v_cmpx_eq_i32 \dst, \src0, \src1 
.endm

.macro _v_cmpx_eq_i64 dst, src0, src1=
   v_cmpx_eq_i64 \dst, \src0, \src1 
.endm

.macro _v_cmpx_eq_u16 dst, src0, src1=
   v_cmpx_eq_u16 \dst, \src0, \src1 
.endm

.macro _v_cmpx_eq_u32 dst, src0, src1=
   v_cmpx_eq_u32 \dst, \src0, \src1 
.endm

.macro _v_cmpx_eq_u64 dst, src0, src1=
   v_cmpx_eq_u64 \dst, \src0, \src1 
.endm

.macro _v_cmpx_le_i16 dst, src0, src1=
   v_cmpx_le_i16 \dst, \src0, \src1 
.endm

.macro _v_cmpx_le_i32 dst, src0, src1=
   v_cmpx_le_i32 \dst, \src0, \src1 
.endm

.macro _v_cmpx_le_i64 dst, src0, src1=
   v_cmpx_le_i64 \dst, \src0, \src1 
.endm

.macro _v_cmpx_le_u16 dst, src0, src1=
   v_cmpx_le_u16 \dst, \src0, \src1 
.endm

.macro _v_cmpx_le_u32 dst, src0, src1=
   v_cmpx_le_u32 \dst, \src0, \src1 
.endm

.macro _v_cmpx_le_u64 dst, src0, src1=
   v_cmpx_le_u64 \dst, \src0, \src1 
.endm

.macro _v_cmpx_gt_i16 dst, src0, src1=
   v_cmpx_gt_i16 \dst, \src0, \src1 
.endm

.macro _v_cmpx_gt_i32 dst, src0, src1=
   v_cmpx_gt_i32 \dst, \src0, \src1 
.endm

.macro _v_cmpx_gt_i64 dst, src0, src1=
   v_cmpx_gt_i64 \dst, \src0, \src1 
.endm

.macro _v_cmpx_gt_u16 dst, src0, src1=
   v_cmpx_gt_u16 \dst, \src0, \src1 
.endm

.macro _v_cmpx_gt_u32 dst, src0, src1=
   v_cmpx_gt_u32 \dst, \src0, \src1 
.endm

.macro _v_cmpx_gt_u64 dst, src0, src1=
   v_cmpx_gt_u64 \dst, \src0, \src1 
.endm

.macro _v_cmpx_ne_i16 dst, src0, src1=
   v_cmpx_ne_i16 \dst, \src0, \src1 
.endm

.macro _v_cmpx_ne_i32 dst, src0, src1=
   v_cmpx_ne_i32 \dst, \src0, \src1 
.endm

.macro _v_cmpx_ne_i64 dst, src0, src1=
   v_cmpx_ne_i64 \dst, \src0, \src1 
.endm

.macro _v_cmpx_ne_u16 dst, src0, src1=
   v_cmpx_ne_u16 \dst, \src0, \src1 
.endm

.macro _v_cmpx_ne_u32 dst, src0, src1=
   v_cmpx_ne_u32 \dst, \src0, \src1 
.endm

.macro _v_cmpx_ne_u64 dst, src0, src1=
   v_cmpx_ne_u64 \dst, \src0, \src1 
.endm

.macro _v_cmpx_lg_i16 dst, src0, src1=
   v_cmpx_lg_i16 \dst, \src0, \src1 
.endm

.macro _v_cmpx_lg_i32 dst, src0, src1=
   v_cmpx_lg_i32 \dst, \src0, \src1 
.endm

.macro _v_cmpx_lg_i64 dst, src0, src1=
   v_cmpx_lg_i64 \dst, \src0, \src1 
.endm

.macro _v_cmpx_lg_u16 dst, src0, src1=
   v_cmpx_lg_u16 \dst, \src0, \src1 
.endm

.macro _v_cmpx_lg_u32 dst, src0, src1=
   v_cmpx_lg_u32 \dst, \src0, \src1 
.endm

.macro _v_cmpx_lg_u64 dst, src0, src1=
   v_cmpx_lg_u64 \dst, \src0, \src1 
.endm

.macro _v_cmpx_ge_i16 dst, src0, src1=
   v_cmpx_ge_i16 \dst, \src0, \src1 
.endm

.macro _v_cmpx_ge_i32 dst, src0, src1=
   v_cmpx_ge_i32 \dst, \src0, \src1 
.endm

.macro _v_cmpx_ge_i64 dst, src0, src1=
   v_cmpx_ge_i64 \dst, \src0, \src1 
.endm

.macro _v_cmpx_ge_u16 dst, src0, src1=
   v_cmpx_ge_u16 \dst, \src0, \src1 
.endm

.macro _v_cmpx_ge_u32 dst, src0, src1=
   v_cmpx_ge_u32 \dst, \src0, \src1 
.endm

.macro _v_cmpx_ge_u64 dst, src0, src1=
   v_cmpx_ge_u64 \dst, \src0, \src1 
.endm

.macro _v_cmpx_o_i16 dst, src0, src1=
   v_cmpx_o_i16 \dst, \src0, \src1 
.endm

.macro _v_cmpx_o_i32 dst, src0, src1=
   v_cmpx_o_i32 \dst, \src0, \src1 
.endm

.macro _v_cmpx_o_i64 dst, src0, src1=
   v_cmpx_o_i64 \dst, \src0, \src1 
.endm

.macro _v_cmpx_o_u16 dst, src0, src1=
   v_cmpx_o_u16 \dst, \src0, \src1 
.endm

.macro _v_cmpx_o_u32 dst, src0, src1=
   v_cmpx_o_u32 \dst, \src0, \src1 
.endm

.macro _v_cmpx_o_u64 dst, src0, src1=
   v_cmpx_o_u64 \dst, \src0, \src1 
.endm

.macro _v_cmpx_u_i16 dst, src0, src1=
   v_cmpx_u_i16 \dst, \src0, \src1 
.endm

.macro _v_cmpx_u_i32 dst, src0, src1=
   v_cmpx_u_i32 \dst, \src0, \src1 
.endm

.macro _v_cmpx_u_i64 dst, src0, src1=
   v_cmpx_u_i64 \dst, \src0, \src1 
.endm

.macro _v_cmpx_u_u16 dst, src0, src1=
   v_cmpx_u_u16 \dst, \src0, \src1 
.endm

.macro _v_cmpx_u_u32 dst, src0, src1=
   v_cmpx_u_u32 \dst, \src0, \src1 
.endm

.macro _v_cmpx_u_u64 dst, src0, src1=
   v_cmpx_u_u64 \dst, \src0, \src1 
.endm
.macro _v_mac_f32 c:req, a:req, b:req
    v_fmac_f32 \c, \a, \b
.endmacro

/* scale global load macros */
.macro _s_load_b32 dst base offset
    s_load_dword \dst \base \offset
.endm

.macro _s_load_b64 dst base offset
    s_load_dwordx2 \dst \base \offset
.endm

.macro _s_load_b128 dst base offset
    s_load_dwordx4 \dst \base \offset
.endm

.macro _s_load_b256 dst base offset
    s_load_dwordx8 \dst \base \offset
.endm

.macro _s_load_b512 dst base offset
    s_load_dwordx16 \dst \base \offset
.endm


/* ds operation macros */
.macro _ds_load_u8 dst src offset
    ds_read_u8 \dst \src \offset
.endm

.macro _ds_load_u8_d16_hi dst src offset
    ds_read_u8_d16_hi \dst \src \offset
.endm

.macro _ds_load_u16 dst src offset
    ds_read_u16 \dst \src \offset
.endm

.macro _ds_load_u16_d16_hi dst src offset
    ds_read_u16_d16_hi \dst \src \offset
.endm

.macro _ds_load_b32 dst src offset
    ds_read_b32 \dst \src \offset
.endm

.macro _ds_load_b64 dst src offset
    ds_read_b64 \dst \src \offset
.endm

.macro _ds_load_b128 dst src offset
    ds_read_b128 \dst \src \offset
.endm

.macro _ds_store_b8 dst src offset
    ds_write_b8 \dst \src \offset
.endm

.macro _ds_store_b8_d16_hi dst src offset
    ds_write_b8_d16_hi \dst \src \offset
.endm

.macro _ds_store_b16 dst src offset
    ds_write_b16 \dst \src \offset
.endm

.macro _ds_store_b16_d16_hi dst src offset
    ds_write_b16_d16_hi \dst \src \offset
.endm

.macro _ds_store_b32 dst src offset
    ds_write_b32 \dst \src \offset
.endm

.macro _ds_store_b64 dst src offset
    ds_write_b64 \dst \src \offset
.endm

.macro _ds_store_b128 dst src offset
    ds_write_b128 \dst \src \offset
.endm

.macro _ds_load2_b32 dst src offset1 offset2
    ds_read2_b32 \dst \src \offset1 \offset2
.endm

.macro _ds_load2_b64 dst src offset1 offset2
    ds_read2_b64 \dst \src \offset1 \offset2
.endm

.macro _ds_store2_b32 dst src offset1 offset2
    ds_write2_b32 \dst \src \offset1 \offset2
.endm

.macro _ds_store2_b64 dst src offset1 offset2
    ds_write2_b64 \dst \src \offset1 \offset2
.endm


/* buffer memory operation macros */
.macro _buffer_load_b32 dst voffset base soffset offen ioffset md0 md1 md2
    buffer_load_dword \dst \voffset \base \soffset \offen \ioffset \md0 \md1 \md2
.endm

.macro _buffer_load_b64 dst voffset base soffset offen ioffset md0 md1 md2
    buffer_load_dwordx2 \dst \voffset \base \soffset \offen \ioffset \md0 \md1 \md2
.endm

.macro _buffer_load_b96 dst voffset base soffset offen ioffset md0 md1 md2
    buffer_load_dwordx3 \dst \voffset \base \soffset \offen \ioffset \md0 \md1 \md2
.endm

.macro _buffer_load_b128 dst voffset base soffset offen ioffset md0 md1 md2
    buffer_load_dwordx4 \dst \voffset \base \soffset \offen \ioffset \md0 \md1 \md2
.endm

.macro _buffer_load_d16_b16 dst voffset base soffset offen ioffset md0 md1 md2
    buffer_load_short_d16 \dst \voffset \base \soffset \offen \ioffset \md0 \md1 \md2
.endm

.macro _buffer_load_d16_hi_b16 dst voffset base soffset offen ioffset md0 md1 md2
    buffer_load_short_d16_hi \dst \voffset \base \soffset \offen \ioffset \md0 \md1 \md2
.endm

.macro _buffer_load_d16_u8 dst voffset base soffset offen ioffset md0 md1 md2
    buffer_load_ubyte_d16 \dst \voffset \base \soffset \offen \ioffset \md0 \md1 \md2
.endm

.macro _buffer_load_d16_hi_u8 dst voffset base soffset offen ioffset md0 md1 md2
    buffer_load_ubyte_d16_hi \dst \voffset \base \soffset \offen \ioffset \md0 \md1 \md2
.endm

.macro _buffer_load_u16 dst voffset base soffset offen ioffset md0 md1 md2
    buffer_load_ushort \dst \voffset \base \soffset \offen \ioffset \md0 \md1 \md2
.endm

.macro _buffer_load_b32_dtl voffset base soffset offen ioffset md0 md1 md2
    buffer_load_dword \voffset \base \soffset \offen \ioffset \md0 \md1 \md2
.endm

.macro _buffer_load_b64_dtl voffset base soffset offen ioffset md0 md1 md2
    buffer_load_dwordx2 \voffset \base \soffset \offen \ioffset \md0 \md1 \md2
.endm

.macro _buffer_load_b128_dtl voffset base soffset offen ioffset md0 md1 md2
    buffer_load_dwordx4 \voffset \base \soffset \offen \ioffset \md0 \md1 \md2
.endm

.macro _buffer_load_u16_dtl voffset base soffset offen ioffset md0 md1 md2
    buffer_load_ushort \voffset \base \soffset \offen \ioffset \md0 \md1 \md2
.endm

.macro _buffer_store_b32 src voffset base soffset offen ioffset md0 md1 md2
    buffer_store_dword \src \voffset \base \soffset \offen \ioffset \md0 \md1 \md2
.endm

.macro _buffer_store_b64 src voffset base soffset offen ioffset md0 md1 md2
    buffer_store_dwordx2 \src \voffset \base \soffset \offen \ioffset \md0 \md1 \md2
.endm

.macro _buffer_store_b96 src voffset base soffset offen ioffset md0 md1 md2
    buffer_store_dwordx3 \src \voffset \base \soffset \offen \ioffset \md0 \md1 \md2
.endm

.macro _buffer_store_b128 src voffset base soffset offen ioffset md0 md1 md2
    buffer_store_dwordx4 \src \voffset \base \soffset \offen \ioffset \md0 \md1 \md2
.endm

.macro _buffer_store_b16 src voffset base soffset offen ioffset md0 md1 md2
    buffer_store_short \src \voffset \base \soffset \offen \ioffset \md0 \md1 \md2
.endm

.macro _buffer_store_d16_hi_b16 src voffset base soffset offen ioffset md0 md1 md2
    buffer_store_short_d16_hi \src \voffset \base \soffset \offen \ioffset \md0 \md1 \md2
.endm

.macro _buffer_store_b8 src voffset base soffset offen ioffset md0 md1 md2
    buffer_store_byte \src \voffset \base \soffset \offen \ioffset \md0 \md1 \md2
.endm

.macro _buffer_store_d16_hi_b8 src voffset base soffset offen ioffset md0 md1 md2
    buffer_store_byte_d16_hi \src \voffset \base \soffset \offen \ioffset \md0 \md1 \md2
.endm

.macro _buffer_atomic_cmpswap_b32 dst voffset base soffset offen ioffset md0 md1 md2
    buffer_atomic_cmpswap \dst \voffset \base \soffset \offen \ioffset \md0 \md1 \md2
.endm

.macro _buffer_atomic_cmpswap_b64 dst voffset base soffset offen ioffset md0 md1 md2
    buffer_atomic_cmpswap_x2 \dst \voffset \base \soffset \offen \ioffset \md0 \md1 \md2
.endm


/* buffer memory operation macros */
.macro _global_load_b32 dst base src ioffset md0 md1 md2
    global_load_dword \dst \base \src \ioffset \md0 \md1 \md2
.endm

.macro _global_load_b64 dst base src ioffset md0 md1 md2
    global_load_dwordx2 \dst \base \src \ioffset \md0 \md1 \md2
.endm

.macro _global_load_b96 dst base src ioffset md0 md1 md2
    global_load_dwordx3 \dst \base \src \ioffset \md0 \md1 \md2
.endm

.macro _global_load_b128 dst base src ioffset md0 md1 md2
    global_load_dwordx4 \dst \base \src \ioffset \md0 \md1 \md2
.endm

.macro _global_load_d16_b16 dst base src ioffset md0 md1 md2
    global_load_short_d16 \dst \base \src \ioffset \md0 \md1 \md2
.endm

.macro _global_load_d16_hi_b16 dst base src ioffset md0 md1 md2
    global_load_short_d16_hi \dst \base \src \ioffset \md0 \md1 \md2
.endm

.macro _global_load_d16_u8 dst base src ioffset md0 md1 md2
    global_load_ubyte_d16 \dst \base \src \ioffset \md0 \md1 \md2
.endm

.macro _global_load_d16_hi_u8 dst base src ioffset md0 md1 md2
    global_load_ubyte_d16_hi \dst \base \src \ioffset \md0 \md1 \md2
.endm

.macro _global_load_u16 dst base src ioffset md0 md1 md2
    global_load_ushort \dst \base \src \ioffset \md0 \md1 \md2
.endm

.macro _global_store_b32 base src src2 md0 md1 md2
    global_store_dword \base \src \src2 \md0 \md1 \md2
.endm

.macro _global_store_b64 base src src2 md0 md1 md2
    global_store_dwordx2 \base \src \src2 \md0 \md1 \md2
.endm

.macro _global_store_b96 base src src2 md0 md1 md2
    global_store_dwordx3 \base \src \src2 \md0 \md1 \md2
.endm

.macro _global_store_b128 base src src2 md0 md1 md2
    global_store_dwordx4 \base \src \src2 \md0 \md1 \md2
.endm

.macro _global_store_d16_b16 base src src2 md0 md1 md2
    global_store_short \base \src \src2 \md0 \md1 \md2
.endm

.macro _global_store_d16_hi_b16 base src src2 md0 md1 md2
    global_store_short_d16_hi \base \src \src2 \md0 \md1 \md2
.endm

.macro _global_store_d16_u8 base src src2 md0 md1 md2
    global_store_ubyte_d16 \base \src \src2 \md0 \md1 \md2
.endm

.macro _global_store_d16_hi_u8 base src src2 md0 md1 md2
    global_store_ubyte_d16_hi \base \src \src2 \md0 \md1 \md2
.endm

.macro _global_store_u16 base src src2 md0 md1 md2
    global_store_ushort \base \src \src2 \md0 \md1 \md2
.endm

.macro _global_atomic_cmpswap_b32 tmp base data src ioffset md
    global_atomic_cmpswap \tmp \base \data \src \ioffset \md
.endm

.macro _global_atomic_cmpswap_b64 tmp base data src ioffset md
    global_atomic_cmpswap_x2 \tmp \base \data \src \ioffset \md
.endm


/******************************************/
/* Magic div and mod functions            */
/******************************************/
.macro V_MAGIC_DIV dstIdx:req, dividend:req, magicNumber:req, magicShift:req, magicA:req
    v_mul_hi_u32 v[\dstIdx+1], \dividend, \magicNumber
    v_mul_lo_u32 v[\dstIdx+0], \dividend, \magicA
    _v_add_u32 v[\dstIdx+0], v[\dstIdx+0], v[\dstIdx+1]
    v_lshrrev_b32 v[\dstIdx+0], \magicShift, v[\dstIdx+0]
.endm

/******************************************/
/* VGPR Assignments                       */
/******************************************/
/* ValuC range: [0-0), serializedStore enabled */
.set vgprValuC, 0
/* ValuA/B   Xn=PLR buffer idx,  In=InnerUnroll idx */
.set vgprValuA_X0_I0, 0
.set vgprValuA_X1_I0, 3
.set vgprG2LA, 20
.set vgprValuB_X0_I0, 6
.set vgprValuB_X1_I0, 9
.set vgprG2LB, 32
.set vgprLocalWriteAddrA, 12
.set vgprLocalWriteAddrB, 13
.set vgprGlobalReadOffsetA, 14
.set vgprGlobalReadOffsetB, 17
.set vgprLocalReadAddrA, 44
.set vgprLocalReadAddrB, 45
.set vgprSerial, 46
/* Num VGPR=256 */
/* Num AccVGPR=36 */

/******************************************/
/* SGPR Assignments                       */
/******************************************/
.set sgprKernArgAddress, 0 // (2)
.set sgprWorkGroup0, 2 // (1)
.set sgprWorkGroup1, 3 // (1)
.set sgprWorkGroup2, 4 // (1)
.set sgprLoopCounterL, 5 // (1)
.set sgprOrigLoopCounter, 6 // (1)
.set sgprSrdA, 8 // (4)
.set sgprSrdB, 12 // (4)
.set sgprSrdD, 16 // (4)
.set sgprSrdC, 20 // (4)
.set sgprTensor2dSizeA, 24 // (2)
.set sgprTensor2dSizeB, 26 // (2)
.set sgprAddressD, 28 // (2)
.set sgprAddressC, 30 // (2)
.set sgprAddressA, 32 // (2)
.set sgprAddressB, 34 // (2)
.set sgprAlpha, 36 // (1)
.set sgprBeta, 37 // (1)
.set sgprStridesD, 38 // (2)
.set sgprStridesC, 40 // (2)
.set sgprStridesA, 42 // (2)
.set sgprStridesB, 44 // (2)
.set sgprSizesFree, 46 // (3)
.set sgprSizesSum, 49 // (1)
.set sgprNumWorkGroups0, 50 // (1)
.set sgprNumWorkGroups1, 51 // (1)
.set sgprShadowLimitA, 0 // (2)
.set sgprShadowLimitB, 28 // (2)
.set sgprGlobalReadIncsA, 7 // (1)
.set sgprGlobalReadIncsB, 30 // (1)
/* max SGPR=58 */

/* Size Assignments */
.set sgprSizeI, sgprSizesFree+0
.set sgprSizeJ, sgprSizesFree+1
.set sgprSizeK, sgprSizesFree+2
.set sgprSizeL, sgprSizesSum+0

/* Stride Assignments */
.set constStrideD0I, 1
.set sgprStrideD1J, sgprStridesD+0
.set sgprStrideDK, sgprStridesD+1
.set constStrideC0I, 1
.set sgprStrideC1J, sgprStridesC+0
.set sgprStrideCK, sgprStridesC+1
.set constStrideA0I, 1
.set sgprStrideAL, sgprStridesA+0
.set sgprStrideAK, sgprStridesA+1
.set constStrideB1J, 1
.set sgprStrideBL, sgprStridesB+0
.set sgprStrideBK, sgprStridesB+1

.set MT0, 96
.set MT1, 96
.set DepthU, 128
.set GSU, 1
.set BpeA, 1
.set BpeALog2, 0
.set BpeB, 1
.set BpeBLog2, 0
/* Number of elements to shift-left SRD */
.set SrdShiftLeftA, 16
.set SrdShiftLeftB, 16
/* 2GB limit - set offsets to -1 to exceed this and clamp */
.set BufferLimitA, 0xffffffff
.set BufferLimitB, 0xffffffff
.set BufferOOB, 0xfffff000

/******************************************/
/* Bits 127:96 of SRD.                    */
/* hex: 0x00020000                        */
/* dst_sel_x (3b): 0                      */
/* dst_sel_y (3b): 0                      */
/* dst_sel_z (3b): 0                      */
/* dst_sel_w (3b): 0                      */
/* num_format (3b): 0                     */
/* data_format (4b): 4                    */
/* user_vm_enable (1b): 0                 */
/* user_vm_mode (1b): 0                   */
/* index_stride (2b): 0                   */
/* add_tid_enable (1b): 0                 */
/* _unusedA (3b): 0                       */
/* nv (1b): 0                             */
/* _unusedB (2b): 0                       */
/* type (2b): 0                           */
/******************************************/
.set Srd127_96, 0x00020000

/* Global Offset A */
.macro GLOBAL_OFFSET_A vgprAddr:req vgprOffset0I:req vgprOffsetL:req vgprTmp:req
v_mul_lo_u32 v[\vgprTmp+0], s[sgprStrideAL], v[\vgprOffsetL] // mul d1 lower
_v_add_co_u32 v[\vgprAddr+0], vcc, v[\vgprOffset0I], v[\vgprTmp+0] // accumulate K lower
_v_add_u32 v[\vgprAddr+0], 0x10, v[\vgprAddr+0]    // add prepad for pointer shift
                                                   // offset *= bytes/element (multiplier is 1, do nothing)
.endm

/* Global Offset B */
.macro GLOBAL_OFFSET_B vgprAddr:req vgprOffset1J:req vgprOffsetL:req vgprTmp:req
v_mul_lo_u32 v[\vgprTmp+0], s[sgprStrideBL], v[\vgprOffsetL] // mul d1 lower
_v_add_co_u32 v[\vgprAddr+0], vcc, v[\vgprOffset1J], v[\vgprTmp+0] // accumulate K lower
_v_add_u32 v[\vgprAddr+0], 0x10, v[\vgprAddr+0]    // add prepad for pointer shift
                                                   // offset *= bytes/element (multiplier is 1, do nothing)
.endm

/******************************************/
/* Dynamic Scalar Divide: vQuotient=vDividend/vDivisor; vRemainder=vDividend%vDivisor; */
/******************************************/
.macro DYNAMIC_VECTOR_DIVIDE vQuotient vRemainder vDividend vDivisor vTmp0 vTmp1 sTmp
v_cvt_f32_u32 v[\vQuotient], v[\vDivisor]          // 
v_rcp_f32 v[\vQuotient], v[\vQuotient]             // 
v_mul_f32 v[\vQuotient], 0x4f800000, v[\vQuotient] // 
v_cvt_u32_f32 v[\vQuotient], v[\vQuotient]         // 
v_mul_lo_u32 v[\vRemainder], v[\vDivisor], v[\vQuotient] // 
v_mul_hi_u32 v[\vTmp0], v[\vDivisor], v[\vQuotient] // 
_v_sub_co_u32 v[\vTmp1], vcc, 0x0, v[\vRemainder]  // 
v_cmp_ne_i32 s[\sTmp:\sTmp+1], 0x0, v[\vTmp0]      // 
v_cndmask_b32 v[\vRemainder], v[\vTmp1], v[\vRemainder], s[\sTmp:\sTmp+1] // 
v_mul_hi_u32 v[\vRemainder], v[\vRemainder], v[\vQuotient] // 
_v_sub_co_u32 v[\vTmp0], vcc, v[\vQuotient], v[\vRemainder] // 
_v_add_co_u32 v[\vQuotient], vcc, v[\vQuotient], v[\vRemainder] // 
v_cndmask_b32 v[\vQuotient], v[\vQuotient], v[\vTmp0], s[\sTmp:\sTmp+1] // 
v_mul_hi_u32 v[\vQuotient], v[\vQuotient], v[\vDividend] // 
v_mul_lo_u32 v[\vRemainder], v[\vQuotient], v[\vDivisor] // 
_v_sub_co_u32 v[\vTmp0], vcc, v[\vDividend], v[\vRemainder] // 
v_cmp_ge_u32 s[\sTmp:\sTmp+1], v[\vDividend], v[\vRemainder] // 
_v_add_co_u32 v[\vRemainder], vcc, 0x1, v[\vQuotient] // 
_v_add_co_u32 v[\vTmp1], vcc, -1, v[\vQuotient]    // 
v_cmp_le_u32 vcc, v[\vDivisor], v[\vTmp0]          // 
s_and_b64 vcc, s[\sTmp:\sTmp+1], vcc               // 
v_cndmask_b32 v[\vQuotient], v[\vQuotient], v[\vRemainder], vcc // 
v_cndmask_b32 v[\vQuotient], v[\vTmp1], v[\vQuotient], s[\sTmp:\sTmp+1] // 
v_cmp_ne_i32 vcc, 0x0, v[\vDivisor]                // 
v_cndmask_b32 v[\vQuotient], -1, v[\vQuotient], vcc // final result
v_mul_lo_u32 v[\vRemainder], v[\vQuotient], v[\vDivisor] // 
_v_sub_co_u32 v[\vRemainder], vcc, v[\vDividend], v[\vRemainder] // final result
.endm


	;; [unrolled: 1-line block ×3, first 2 shown]
/******************************************/
/* Allocate Resources                     */
/******************************************/

Cijk_Ailk_Bjlk_I8II_BH_MT96x96x128_MI16x16x16x1_SE_1LDSB0_APM1_AF0EM8_AF1EM1_AMAS0_ASE_ASAE01_ASCE01_ASEM1_BL1_DTLA0_DTLB0_DVO0_EPS1_FL0_GLVWA16_GLVWB16_GRVW16_GSU1_GSUASB_ISA908_IU1_K1_KLA_LBSPPA0_LBSPPB0_LPA0_LPB0_LDL1_LRVW4_LDW0_FMA_MDA2_MMFGLC_NTC0_NTD0_NEPBS0_NLCA3_NLCB3_ONLL1_OPLV0_PK0_PAP0_PGR1_PLR1_SIA3_SS0_SU0_SUM0_SUS0_SPO0_SRVW0_SSO0_SVW4_SNLL0_TT3_48_TLDS0_UMLDSA0_UMLDSB0_USFGROn1_VAW1_VSn1_VW1_VWB1_WSGRA1_WSGRB1_WG32_8_1_WGM1_preloaded: // Kernel start when preloading

/* Load Kernel Args */
_s_load_b512 s[24:39], s[sgprKernArgAddress:sgprKernArgAddress+1], 0x0 // 
_s_load_b256 s[40:47], s[sgprKernArgAddress:sgprKernArgAddress+1], 0x40 // 
_s_load_b128 s[48:51], s[sgprKernArgAddress:sgprKernArgAddress+1], 0x60 // 
s_mov_b32 m0, 0xe000                               // LDS clamp at 57344 bytes
v_mov_b32 v[vgprSerial], v0                        // thread serial id

/******************************************/
/* Local Read Addresses                   */
/******************************************/


/* local read addresses: tile assignments a/b */

/*lr0I*/
v_and_b32 v1, 63, v[vgprSerial]                    // 0. thread id in wave: wtid = tid % wavelength(64)
v_and_b32 v0, 15, v1                               // 1. N offset: nIdx = wtid % MI_N(16)
                                                   // 1. N offset: nOffset = nIdx * nStride(1) (multiplier is 1, do nothing)
                                                   // 2. block offset: bnIdx = bnIdx % num1DBlocks(1) is 0. do nothing
                                                   // 4. apply VectorWidth: bnOffset = bnOffset * vw(1) (multiplier is 1, do nothing)
v_lshrrev_b32 v1, 4, v1                            // 5. K offset: kIdx = wtid / (MIN(16) * MIBB(1))
s_mov_b32 s7, 0x180                                // 5. K offset: lrKOffset = kIdx * mStride(384)
v_mul_lo_u32 v1, s7, v1                            // 5. K offset: lrKOffset = kIdx * mStride(384)
_v_add_u32 v0, v1, v0                              // 6. offset in wave: lrOffset = bnOffset + lrKOffset
v_lshrrev_b32 v2, 6, v[vgprSerial]                 // 7. wave offset in N dimen: wtid = tid / dividedForWaveId(64)
v_and_b32 v1, 1, v2                                // 7. wave offset in M dimen: wtid0 = wtid / num1DWaves(2)
v_lshlrev_b32 v1, 0x4, v1                          // 7. wave offset in M dimen: wOffset = wtid0 * W0Stride(16)
_v_add_u32 v0, v1, v0                              // 8. final local read offset: flrOffset = lrOffset + WOffset
/*lr1J*/
v_and_b32 v2, 63, v[vgprSerial]                    // 0. thread id in wave: wtid = tid % wavelength(64)
v_and_b32 v1, 15, v2                               // 1. N offset: nIdx = wtid % MI_N(16)
                                                   // 1. N offset: nOffset = nIdx * nStride(1) (multiplier is 1, do nothing)
                                                   // 2. block offset: bnIdx = bnIdx % num1DBlocks(1) is 0. do nothing
                                                   // 4. apply VectorWidth: bnOffset = bnOffset * vw(1) (multiplier is 1, do nothing)
v_lshrrev_b32 v2, 4, v2                            // 5. K offset: kIdx = wtid / (MIN(16) * MIBB(1))
s_mov_b32 s7, 0x180                                // 5. K offset: lrKOffset = kIdx * mStride(384)
v_mul_lo_u32 v2, s7, v2                            // 5. K offset: lrKOffset = kIdx * mStride(384)
_v_add_u32 v1, v2, v1                              // 6. offset in wave: lrOffset = bnOffset + lrKOffset
v_lshrrev_b32 v3, 7, v[vgprSerial]                 // 7. wave offset in N dimen: wtid = tid / dividedForWaveId(128)
v_and_b32 v2, 1, v3                                // 7. wave offset in M dimen: wtid0 = wtid / num1DWaves(2)
v_lshlrev_b32 v2, 0x4, v2                          // 7. wave offset in M dimen: wOffset = wtid0 * W0Stride(16)
_v_add_u32 v1, v2, v1                              // 8. final local read offset: flrOffset = lrOffset + WOffset


/* local read addresses: final offsets a */

v_lshlrev_b32 v[vgprLocalReadAddrA], 0x0, v0       // Final Offset: offset = (lro0)*bpe


/* local read addresses: final offsets b */

v_lshlrev_b32 v[vgprLocalReadAddrB], 0x0, v1       // Final Offset: offset = (lro1)*bpe


/* local read addresses: declare addresses a */

/* N/A */


/* local read addresses: declare addresses b */

_v_add_co_u32 v[vgprLocalReadAddrB+0], vcc, 0x3000, v[vgprLocalReadAddrB+0] //  += LdsOffsetB (lower)


/* global read addresses: tile offset assignment a */

/* LVCA = 2 */
/* v0 = (local)groA-tile = serial%LVCA (note (wgA*MTA) will be added to SRD) */
/* v1 = groA-unroll = serial/LVCA */
v_and_b32 v2, 63, v[vgprSerial]                    // v2 = v[vgprSerial] % 64
v_lshrrev_b32 v1, 1, v2                            // v1 = v2 / 2
v_and_b32 v0, 1, v2                                // v0 = v2 % 2
v_readfirstlane_b32 s52, v[vgprSerial]             // WaveIdxWavefrontWidth
s_lshr_b32 s52, s52, 0x6                           // WaveId
s_mul_i32 s52, s52, 32                             // Global Read Wave: each wave loads continuous lsp(32)*nrp(1) columns
_v_add_u32 v1, s52, v1                             // Global Read Wave: add back to column index
/* gro-tile *= glvw */
v_lshlrev_b32 v0, 0x4, v0                          // v0 = v0 * 16


/* global read addresses: tile offset assignment b */

/* LVCB = 2 */
/* v2 = (local)groB-tile = serial%LVCB (note (wgB*MTB) will be added to SRD) */
/* v3 = groB-unroll = serial/LVCB */
v_and_b32 v4, 63, v[vgprSerial]                    // v4 = v[vgprSerial] % 64
v_lshrrev_b32 v3, 1, v4                            // v3 = v4 / 2
v_and_b32 v2, 1, v4                                // v2 = v4 % 2
v_readfirstlane_b32 s52, v[vgprSerial]             // WaveIdxWavefrontWidth
s_lshr_b32 s52, s52, 0x6                           // WaveId
s_mul_i32 s52, s52, 32                             // Global Read Wave: each wave loads continuous lsp(32)*nrp(1) columns
_v_add_u32 v3, s52, v3                             // Global Read Wave: add back to column index
/* gro-tile *= glvw */
v_lshlrev_b32 v2, 0x4, v2                          // v2 = v2 * 16


/******************************************/
/* Local Write Addresses                  */
/******************************************/

/* lwaTileAssignmentA = v0 */

/* lwaTileAssignmentB = v2 */

/* lwaUnrollAssignmentA = v1 */

/* lwaUnrollAssignmentB = v3 */


/* local write addresses: first offset a */

v_mul_u32_u24 v[vgprLocalWriteAddrA], 0x60, v1     // lwAL**(MTA + PAD)
_v_add_lshl_u32 v[vgprLocalWriteAddrA], v0, v[vgprLocalWriteAddrA], 0x0 // lwFOA = (lwAA + lwAL*(MT0I+PAD))*bpe


/* local write addresses: first offset b */

v_mul_u32_u24 v[vgprLocalWriteAddrB], 0x60, v3     // lwBL**(MTB + PAD)
_v_add_lshl_u32 v[vgprLocalWriteAddrB], v2, v[vgprLocalWriteAddrB], 0x0 // lwFOB = (lwBB + lwBL*(MT1J+PAD))*bpe
_v_add_co_u32 v[vgprLocalWriteAddrB], vcc, 0x3000, v[vgprLocalWriteAddrB] // lwFOB = lwB1J + lwBL*MT1J + LDS_OFFSET_B=12288*1


	;; [unrolled: 1-line block ×7, first 2 shown]
s_waitcnt lgkmcnt(0)                               // wait for 112 bytes of kern args
s_mov_b64 s[sgprSrdC+0:sgprSrdC+0+1], s[sgprAddressC+0:sgprAddressC+0+1] // copy addressC
s_mov_b64 s[sgprSrdD+0:sgprSrdD+0+1], s[sgprAddressD+0:sgprAddressD+0+1] // copy addressD
s_sub_u32 s[sgprSrdA+0], s[sgprAddressA+0], 16     // pre-pad to make room for possible pointer shift
s_subb_u32 s[sgprSrdA+1], s[sgprAddressA+1], 0     // pre-pad to make room for possible pointer shift
s_sub_u32 s[sgprSrdB+0], s[sgprAddressB+0], 16     // pre-pad to make room for possible pointer shift
s_subb_u32 s[sgprSrdB+1], s[sgprAddressB+1], 0     // pre-pad to make room for possible pointer shift

.set AddressD, UNDEF
.set AddressC, UNDEF
.set AddressA, UNDEF
.set AddressB, UNDEF

/* Short circuit condition if Alpha == 0, then sumDims=0 */
s_cmp_eq_u32 s[sgprAlpha], 0                       // Alpha == 0 ?
s_cmov_b32 s[sgprSizesSum+0], 0x0                  // Set summation dim=0 if Alpha == 0


	;; [unrolled: 1-line block ×3, first 2 shown]
/******************************************/
/* Begin setupNewTile, isPap=False           */
/******************************************/


/* global read addresses: work-group */

/* graWorkGroup mapping */


/* global read addresses: unroll assignment a */

/* v1 */


/* global read addresses: unroll assignment b */

/* v3 */


/* global read addresses: other free assignments */

/* s[sgprWorkGroup2] */


/* global read addresses: tile offsets a */

v_mov_b32 v4, v0                                   // groA0I_0
_v_add_co_u32 v5, vcc, 32, v4                      // groA0I_1 += LSCA
_v_add_co_u32 v6, vcc, 32, v5                      // groA0I_2 += LSCA


/* global read addresses: tile offsets b */

v_mov_b32 v7, v2                                   // groB1J_0
_v_add_co_u32 v8, vcc, 32, v7                      // groB1J_1 += LSCB
_v_add_co_u32 v9, vcc, 32, v8                      // groB1J_2 += LSCB


/* global read addresses: unroll offsets a */

v_mov_b32 v10, v1                                  // groAL_0


/* global read addresses: unroll offsets b */

v_mov_b32 v11, v3                                  // groBL_0


/* global read addresses: shift a */

s_mul_i32 s31, s[sgprWorkGroup0], 96               // WorkGroup[01] * MT
s_sub_u32 s31, s[sgprSizeI], s31                   // edge = Size0I - WG*MT
s_sub_u32 s31, s31, 16                             // edge -= margin(16)
v_mov_b32 v47, s31                                 // edge vgpr = Size0I- WG*MT - margin(16)
v_min_i32 v4, v47, v4                              // offset = (offset < edge) ? offset(v4) : edge(v47)
v_min_i32 v5, v47, v5                              // offset = (offset < edge) ? offset(v5) : edge(v47)
	;; [unrolled: 1-line block ×3, first 2 shown]


/* global read addresses: shift b */

s_mul_i32 s31, s[sgprWorkGroup1], 96               // WorkGroup[01] * MT
s_sub_u32 s31, s[sgprSizeJ], s31                   // edge = Size1J - WG*MT
s_sub_u32 s31, s31, 16                             // edge -= margin(16)
v_mov_b32 v47, s31                                 // edge vgpr = Size1J- WG*MT - margin(16)
v_min_i32 v7, v47, v7                              // offset = (offset < edge) ? offset(v7) : edge(v47)
v_min_i32 v8, v47, v8                              // offset = (offset < edge) ? offset(v8) : edge(v47)
	;; [unrolled: 1-line block ×3, first 2 shown]


/* global read addresses: final offsets a */

GLOBAL_OFFSET_A vgprGlobalReadOffsetA+0,  4, 10, 47 // gROA_0_0_0_0
GLOBAL_OFFSET_A vgprGlobalReadOffsetA+1,  5, 10, 47 // gROA_1_0_0_0
GLOBAL_OFFSET_A vgprGlobalReadOffsetA+2,  6, 10, 47 // gROA_2_0_0_0


/* global read addresses: final offsets b */

GLOBAL_OFFSET_B vgprGlobalReadOffsetB+0,  7, 11, 4 // gROB_0_0_0_0
GLOBAL_OFFSET_B vgprGlobalReadOffsetB+1,  8, 11, 4 // gROB_1_0_0_0
GLOBAL_OFFSET_B vgprGlobalReadOffsetB+2,  9, 11, 4 // gROB_2_0_0_0


/* global read addresses: addresses a */

/* max read offset = size[n] * stride[n-1] */
s_mul_hi_u32 s35, s[sgprWorkGroup0], 96            // WorkGroup[01] * MT
s_mul_i32 s34, s[sgprWorkGroup0], 96               // WorkGroup[01] * MT
s_sub_u32 s[sgprShadowLimitA+0], s[sgprTensor2dSizeA], s34 // sub tileStart
s_subb_u32 s[sgprShadowLimitA+1], s[sgprTensor2dSizeA+1], s35 // sub tileStart
s_lshl_b64 s[sgprShadowLimitA:sgprShadowLimitA+1], s[sgprShadowLimitA:sgprShadowLimitA+1], 0x0 // Set limit to use bytes
s_add_u32 s[sgprShadowLimitA+0], s[sgprShadowLimitA+0], 16 // extend limit for pre-pad
s_addc_u32 s[sgprShadowLimitA+1], s[sgprShadowLimitA+1], 0 // extend limit for pre-pad
s_cmp_eq_u32 s[sgprShadowLimitA+1], 0              // are we within 2^32?
s_cselect_b32 s[sgprSrdA+2], s[sgprShadowLimitA+0], BufferLimitA // Move shadow to real if we are within 2^32
s_mul_hi_u32 s33, s[sgprStrideAK], s[sgprWorkGroup2] // Stride*WG
s_mul_i32 s32, s[sgprStrideAK], s[sgprWorkGroup2]  // Stride*WG
s_add_u32 s34, s34, s32                            // accum wg term to tilestart
s_addc_u32 s35, s35, s33                           // accum wg term to tilestart
                                                   // tileStart *= BPE (multiplier is 1, do nothing)
s_add_u32 s[sgprSrdA+0], s[sgprSrdA+0], s34        // SRD base = Address+ tileStart0
s_addc_u32 s[sgprSrdA+1], s[sgprSrdA+1], s35       // SRD base = Address+ tileStart1
s_mov_b32 s[sgprSrdA+3], Srd127_96                 // Set bits 127_96 in SRD


/* global read addresses: addresses b */

/* max read offset = size[n] * stride[n-1] */
s_mul_hi_u32 s35, s[sgprWorkGroup1], 96            // WorkGroup[01] * MT
s_mul_i32 s34, s[sgprWorkGroup1], 96               // WorkGroup[01] * MT
s_sub_u32 s[sgprShadowLimitB+0], s[sgprTensor2dSizeB], s34 // sub tileStart
s_subb_u32 s[sgprShadowLimitB+1], s[sgprTensor2dSizeB+1], s35 // sub tileStart
s_lshl_b64 s[sgprShadowLimitB:sgprShadowLimitB+1], s[sgprShadowLimitB:sgprShadowLimitB+1], 0x0 // Set limit to use bytes
s_add_u32 s[sgprShadowLimitB+0], s[sgprShadowLimitB+0], 16 // extend limit for pre-pad
s_addc_u32 s[sgprShadowLimitB+1], s[sgprShadowLimitB+1], 0 // extend limit for pre-pad
s_cmp_eq_u32 s[sgprShadowLimitB+1], 0              // are we within 2^32?
s_cselect_b32 s[sgprSrdB+2], s[sgprShadowLimitB+0], BufferLimitB // Move shadow to real if we are within 2^32
s_mul_hi_u32 s33, s[sgprStrideBK], s[sgprWorkGroup2] // Stride*WG
s_mul_i32 s32, s[sgprStrideBK], s[sgprWorkGroup2]  // Stride*WG
s_add_u32 s34, s34, s32                            // accum wg term to tilestart
s_addc_u32 s35, s35, s33                           // accum wg term to tilestart
                                                   // tileStart *= BPE (multiplier is 1, do nothing)
s_add_u32 s[sgprSrdB+0], s[sgprSrdB+0], s34        // SRD base = Address+ tileStart0
s_addc_u32 s[sgprSrdB+1], s[sgprSrdB+1], s35       // SRD base = Address+ tileStart1
s_mov_b32 s[sgprSrdB+3], Srd127_96                 // Set bits 127_96 in SRD


/* global read addresses: increments a */

s_mul_i32 s[sgprGlobalReadIncsA+0], DepthU*BpeA, s[sgprStrideAL] // incrA unrollIdx)


/* global read addresses: increments b */

s_mul_i32 s[sgprGlobalReadIncsB+0], DepthU*BpeB, s[sgprStrideBL] // incrB unrollIdx)

/* declare loop num iterations */


s_lshr_b32 s[sgprLoopCounterL], s[sgprSizesSum+0], 7 // s[sgprLoopCounterL] = s[sgprSizesSum+0] / 128
s_mov_b32 s[sgprOrigLoopCounter], s[sgprLoopCounterL] // copy loop counter

/* local read addresses: init pointers a */


/* localReadInitPointers */

/* local read addresses: init pointers b */


/* localReadInitPointers */


/* prefetch: global -> local */

s_cmp_eq_u32 s[sgprLoopCounterL], 0                // at last iteration?
s_cbranch_scc1 ShadowInitStart_10                  // skip to ShadowInitStart iter b/c numIter==0


_buffer_load_b128 v[vgprG2LA+0:vgprG2LA+0+3], v[vgprGlobalReadOffsetA+0], s[sgprSrdA:sgprSrdA+3], 0, offen offset:0 // G -> Reg 0_0_0_0
_buffer_load_b128 v[vgprG2LA+4:vgprG2LA+4+3], v[vgprGlobalReadOffsetA+1], s[sgprSrdA:sgprSrdA+3], 0, offen offset:0 // G -> Reg 1_0_0_0
_buffer_load_b128 v[vgprG2LA+8:vgprG2LA+8+3], v[vgprGlobalReadOffsetA+2], s[sgprSrdA:sgprSrdA+3], 0, offen offset:0 // G -> Reg 2_0_0_0


_buffer_load_b128 v[vgprG2LB+0:vgprG2LB+0+3], v[vgprGlobalReadOffsetB+0], s[sgprSrdB:sgprSrdB+3], 0, offen offset:0 // G -> Reg 0_0_0_0
_buffer_load_b128 v[vgprG2LB+4:vgprG2LB+4+3], v[vgprGlobalReadOffsetB+1], s[sgprSrdB:sgprSrdB+3], 0, offen offset:0 // G -> Reg 1_0_0_0
_buffer_load_b128 v[vgprG2LB+8:vgprG2LB+8+3], v[vgprGlobalReadOffsetB+2], s[sgprSrdB:sgprSrdB+3], 0, offen offset:0 // G -> Reg 2_0_0_0


/* global read inc A loopL */
s_add_u32 s[sgprSrdA+0], s[sgprSrdA+0], s[sgprGlobalReadIncsA+0] // gra SRD += inc(lower)
s_addc_u32  s[sgprSrdA+1], s[sgprSrdA+1], 0        // gra SRD += inc(upper)
s_sub_u32 s[sgprShadowLimitA+0], s[sgprShadowLimitA+0], s[sgprGlobalReadIncsA+0] // limit -= inc)
s_subb_u32 s[sgprShadowLimitA+1], s[sgprShadowLimitA+1], 0 // limit -= inc)
s_cmp_eq_u32 s[sgprShadowLimitA+1], 0              // are we within 2^32?
s_cmov_b32 s[sgprSrdA+2], s[sgprShadowLimitA+0]    // Move shadow to real if we are within 2^32

/* global read inc B loopL */
s_add_u32 s[sgprSrdB+0], s[sgprSrdB+0], s[sgprGlobalReadIncsB+0] // gra SRD += inc(lower)
s_addc_u32  s[sgprSrdB+1], s[sgprSrdB+1], 0        // gra SRD += inc(upper)
s_sub_u32 s[sgprShadowLimitB+0], s[sgprShadowLimitB+0], s[sgprGlobalReadIncsB+0] // limit -= inc)
s_subb_u32 s[sgprShadowLimitB+1], s[sgprShadowLimitB+1], 0 // limit -= inc)
s_cmp_eq_u32 s[sgprShadowLimitB+1], 0              // are we within 2^32?
s_cmov_b32 s[sgprSrdB+2], s[sgprShadowLimitB+0]    // Move shadow to real if we are within 2^32


/******************************************/
/* End setupNewTile, isPap=False             */
/******************************************/

ShadowInitStart_10: // 

s_mov_b32 s[sgprSrdD+2], BufferOOB                 // 
s_mov_b32 s[sgprSrdD+3], Srd127_96                 // Set bits 127_96 in post-loop SRD

s_mov_b32 s[sgprSrdC+2], BufferOOB                 // 
s_mov_b32 s[sgprSrdC+3], Srd127_96                 // Set bits 127_96 in post-loop SRD


s_mul_i32 s34, MT1, s[sgprWorkGroup1]              // <- wg1*MT1
s_mul_hi_u32 s33, s34, s[sgprStrideC1J]            // CScale s34 by Stride
s_mul_i32 s32, s34, s[sgprStrideC1J]               // CScale s34 by Stride
s_lshl_b64 s[32:33], s[32:33], 2                   // scale by bpe
s_add_u32 s[sgprSrdC+0], s[sgprSrdC+0], s32        // add lo to SRD
s_addc_u32 s[sgprSrdC+1], s[sgprSrdC+1], s33       // add hi to SRD
s_mul_hi_u32 s33, s34, s[sgprStrideD1J]            // Scale s34 by Stride
s_mul_i32 s32, s34, s[sgprStrideD1J]               // Scale s34 by Stride
s_lshl_b64 s[32:33], s[32:33], 2                   // scale by bpe
s_add_u32 s[sgprSrdD+0], s[sgprSrdD+0], s32        // add lo to SRD
s_addc_u32 s[sgprSrdD+1], s[sgprSrdD+1], s33       // add hi to SRD

s_mul_hi_u32 s33, s[sgprWorkGroup2], s[sgprStrideCK] // CScale s[sgprWorkGroup2] by Stride
s_mul_i32 s32, s[sgprWorkGroup2], s[sgprStrideCK]  // CScale s[sgprWorkGroup2] by Stride
s_lshl_b64 s[32:33], s[32:33], 2                   // scale by bpe
s_add_u32 s[sgprSrdC+0], s[sgprSrdC+0], s32        // add lo to SRD
s_addc_u32 s[sgprSrdC+1], s[sgprSrdC+1], s33       // add hi to SRD
s_mul_hi_u32 s33, s[sgprWorkGroup2], s[sgprStrideDK] // Scale s[sgprWorkGroup2] by Stride
s_mul_i32 s32, s[sgprWorkGroup2], s[sgprStrideDK]  // Scale s[sgprWorkGroup2] by Stride
s_lshl_b64 s[32:33], s[32:33], 2                   // scale by bpe
s_add_u32 s[sgprSrdD+0], s[sgprSrdD+0], s32        // add lo to SRD
s_addc_u32 s[sgprSrdD+1], s[sgprSrdD+1], s33       // add hi to SRD


	;; [unrolled: 1-line block ×3, first 2 shown]
/* initC: remove C-tile 0-0 from pool */

/* initC: remove AB-tile 0-12 from pool */
v_accvgpr_write acc0, 0x0                          // initC
v_accvgpr_write acc1, 0x0                          // initC
v_accvgpr_write acc2, 0x0                          // initC
v_accvgpr_write acc3, 0x0                          // initC
v_accvgpr_write acc4, 0x0                          // initC
v_accvgpr_write acc5, 0x0                          // initC
v_accvgpr_write acc6, 0x0                          // initC
v_accvgpr_write acc7, 0x0                          // initC
v_accvgpr_write acc8, 0x0                          // initC
v_accvgpr_write acc9, 0x0                          // initC
v_accvgpr_write acc10, 0x0                         // initC
v_accvgpr_write acc11, 0x0                         // initC
v_accvgpr_write acc12, 0x0                         // initC
v_accvgpr_write acc13, 0x0                         // initC
v_accvgpr_write acc14, 0x0                         // initC
v_accvgpr_write acc15, 0x0                         // initC
v_accvgpr_write acc16, 0x0                         // initC
v_accvgpr_write acc17, 0x0                         // initC
v_accvgpr_write acc18, 0x0                         // initC
v_accvgpr_write acc19, 0x0                         // initC
v_accvgpr_write acc20, 0x0                         // initC
v_accvgpr_write acc21, 0x0                         // initC
v_accvgpr_write acc22, 0x0                         // initC
v_accvgpr_write acc23, 0x0                         // initC
v_accvgpr_write acc24, 0x0                         // initC
v_accvgpr_write acc25, 0x0                         // initC
v_accvgpr_write acc26, 0x0                         // initC
v_accvgpr_write acc27, 0x0                         // initC
v_accvgpr_write acc28, 0x0                         // initC
v_accvgpr_write acc29, 0x0                         // initC
v_accvgpr_write acc30, 0x0                         // initC
v_accvgpr_write acc31, 0x0                         // initC
v_accvgpr_write acc32, 0x0                         // initC
v_accvgpr_write acc33, 0x0                         // initC
v_accvgpr_write acc34, 0x0                         // initC
v_accvgpr_write acc35, 0x0                         // initC

s_cmp_eq_u32 s[sgprLoopCounterL], 0                // at last iteration?

/* after InitC, skip to end of prefetch last iter if numIter==0 */
s_cbranch_scc0 label_NoBranch_11                   // Only branch on scc1
s_getpc_B64 s[32:33]                               // addr of next instr
s_add_i32 s34, PrefetchGlobalLastIterEnd_5, 0x4    // target branch offset
s_add_u32 s32, s32, s34                            // add target branch offset
s_addc_u32 s33, s33, 0                             // add high and carry
s_setpc_b64 s[32:33]                               // branch to PrefetchGlobalLastIterEnd_5
label_NoBranch_11:

s_waitcnt vmcnt(0)                                 // lgkmcnt=-1 vmcnt=0 8wait for global read


/* local write a */
_ds_store_b128 v[vgprLocalWriteAddrA], v[vgprG2LA+0:vgprG2LA+0+3] offset:0 // lwoA_0_0_0_0 = (0*LSCA) + (0*LSPA)(*MT0I+PAD) = 0
_ds_store_b128 v[vgprLocalWriteAddrA], v[vgprG2LA+4:vgprG2LA+4+3] offset:32 // lwoA_1_0_0_0 = (1*LSCA) + (0*LSPA)(*MT0I+PAD) = 32
_ds_store_b128 v[vgprLocalWriteAddrA], v[vgprG2LA+8:vgprG2LA+8+3] offset:64 // lwoA_2_0_0_0 = (2*LSCA) + (0*LSPA)(*MT0I+PAD) = 64

/* local write b */
_ds_store_b128 v[vgprLocalWriteAddrB], v[vgprG2LB+0:vgprG2LB+0+3] offset:0 // lwoB_0_0_0_0 = (0*LSCB) + (0*LSPB)(*MT1J+PAD) = 0
_ds_store_b128 v[vgprLocalWriteAddrB], v[vgprG2LB+4:vgprG2LB+4+3] offset:32 // lwoB_1_0_0_0 = (1*LSCB) + (0*LSPB)(*MT1J+PAD) = 32
_ds_store_b128 v[vgprLocalWriteAddrB], v[vgprG2LB+8:vgprG2LB+8+3] offset:64 // lwoB_2_0_0_0 = (2*LSCB) + (0*LSPB)(*MT1J+PAD) = 64


/* local write swap a */


/* (EPS=1) local write swap internal offset -> 32768 */


/* local write swap b */


/* (EPS=1) local write swap internal offset -> 32768 */


	;; [unrolled: 1-line block ×3, first 2 shown]
s_waitcnt lgkmcnt(0)                               // lgkmcnt=0 vmcnt=-10prefetch wait for local write

s_waitcnt lgkmcnt(0) & vmcnt(0)                    // force waitcnt0
s_barrier //


/* local read prefetch a */

_ds_load_u8 v[vgprValuA_X0_I0+0], v[vgprLocalReadAddrA] offset:0 // L -> Reg lro=0 swapByteOffset=0 ti=32 vIdx=0 rIdx=0 oIdx=0 buffer=0 iui=0
_ds_load_u8 v47, v[vgprLocalReadAddrA] offset:96   // L -> Reg lro=0 swapByteOffset=0 ti=32 vIdx=0 rIdx=1 oIdx=0 buffer=0 iui=0
_ds_load_u8_d16_hi v48, v[vgprLocalReadAddrA] offset:192 // L -> Reg lro=0 swapByteOffset=0 ti=32 vIdx=0 rIdx=2 oIdx=0 buffer=0 iui=0
_ds_load_u8_d16_hi v49, v[vgprLocalReadAddrA] offset:288 // L -> Reg lro=0 swapByteOffset=0 ti=32 vIdx=0 rIdx=3 oIdx=0 buffer=0 iui=0
_ds_load_u8 v[vgprValuA_X0_I0+1], v[vgprLocalReadAddrA] offset:32 // L -> Reg lro=0 swapByteOffset=0 ti=32 vIdx=1 rIdx=0 oIdx=0 buffer=0 iui=0
_ds_load_u8 v50, v[vgprLocalReadAddrA] offset:128  // L -> Reg lro=0 swapByteOffset=0 ti=32 vIdx=1 rIdx=1 oIdx=0 buffer=0 iui=0
_ds_load_u8_d16_hi v51, v[vgprLocalReadAddrA] offset:224 // L -> Reg lro=0 swapByteOffset=0 ti=32 vIdx=1 rIdx=2 oIdx=0 buffer=0 iui=0
_ds_load_u8_d16_hi v52, v[vgprLocalReadAddrA] offset:320 // L -> Reg lro=0 swapByteOffset=0 ti=32 vIdx=1 rIdx=3 oIdx=0 buffer=0 iui=0
_ds_load_u8 v[vgprValuA_X0_I0+2], v[vgprLocalReadAddrA] offset:64 // L -> Reg lro=0 swapByteOffset=0 ti=32 vIdx=2 rIdx=0 oIdx=0 buffer=0 iui=0
_ds_load_u8 v53, v[vgprLocalReadAddrA] offset:160  // L -> Reg lro=0 swapByteOffset=0 ti=32 vIdx=2 rIdx=1 oIdx=0 buffer=0 iui=0
_ds_load_u8_d16_hi v54, v[vgprLocalReadAddrA] offset:256 // L -> Reg lro=0 swapByteOffset=0 ti=32 vIdx=2 rIdx=2 oIdx=0 buffer=0 iui=0
_ds_load_u8_d16_hi v55, v[vgprLocalReadAddrA] offset:352 // L -> Reg lro=0 swapByteOffset=0 ti=32 vIdx=2 rIdx=3 oIdx=0 buffer=0 iui=0


/* local read prefetch b */

_ds_load_u8 v[vgprValuB_X0_I0+0], v[vgprLocalReadAddrB] offset:0 // L -> Reg lro=0 swapByteOffset=0 ti=32 vIdx=0 rIdx=0 oIdx=0 buffer=0 iui=0
_ds_load_u8 v56, v[vgprLocalReadAddrB] offset:96   // L -> Reg lro=0 swapByteOffset=0 ti=32 vIdx=0 rIdx=1 oIdx=0 buffer=0 iui=0
_ds_load_u8_d16_hi v57, v[vgprLocalReadAddrB] offset:192 // L -> Reg lro=0 swapByteOffset=0 ti=32 vIdx=0 rIdx=2 oIdx=0 buffer=0 iui=0
_ds_load_u8_d16_hi v58, v[vgprLocalReadAddrB] offset:288 // L -> Reg lro=0 swapByteOffset=0 ti=32 vIdx=0 rIdx=3 oIdx=0 buffer=0 iui=0
_ds_load_u8 v[vgprValuB_X0_I0+1], v[vgprLocalReadAddrB] offset:32 // L -> Reg lro=0 swapByteOffset=0 ti=32 vIdx=1 rIdx=0 oIdx=0 buffer=0 iui=0
_ds_load_u8 v59, v[vgprLocalReadAddrB] offset:128  // L -> Reg lro=0 swapByteOffset=0 ti=32 vIdx=1 rIdx=1 oIdx=0 buffer=0 iui=0
_ds_load_u8_d16_hi v60, v[vgprLocalReadAddrB] offset:224 // L -> Reg lro=0 swapByteOffset=0 ti=32 vIdx=1 rIdx=2 oIdx=0 buffer=0 iui=0
_ds_load_u8_d16_hi v61, v[vgprLocalReadAddrB] offset:320 // L -> Reg lro=0 swapByteOffset=0 ti=32 vIdx=1 rIdx=3 oIdx=0 buffer=0 iui=0
_ds_load_u8 v[vgprValuB_X0_I0+2], v[vgprLocalReadAddrB] offset:64 // L -> Reg lro=0 swapByteOffset=0 ti=32 vIdx=2 rIdx=0 oIdx=0 buffer=0 iui=0
_ds_load_u8 v62, v[vgprLocalReadAddrB] offset:160  // L -> Reg lro=0 swapByteOffset=0 ti=32 vIdx=2 rIdx=1 oIdx=0 buffer=0 iui=0
_ds_load_u8_d16_hi v63, v[vgprLocalReadAddrB] offset:256 // L -> Reg lro=0 swapByteOffset=0 ti=32 vIdx=2 rIdx=2 oIdx=0 buffer=0 iui=0
_ds_load_u8_d16_hi v64, v[vgprLocalReadAddrB] offset:352 // L -> Reg lro=0 swapByteOffset=0 ti=32 vIdx=2 rIdx=3 oIdx=0 buffer=0 iui=0


/* local read inc a */

/* N/A, lro->1536 */
/* self.localReadDoCntA 1 self.localReadDoCntB 1 */


/* local read inc b */

/* N/A, lro->1536 */
/* self.localReadDoCntA 1 self.localReadDoCntB 1 */


	;; [unrolled: 1-line block ×3, first 2 shown]
/******************************************/
/* Unrolled Loop(s) - Begin               */
/******************************************/

openLoopL_12:
s_cmp_le_u32 s[sgprLoopCounterL], 0x1              // LoopCounterL < EndCounter
s_cbranch_scc1 LoopEndL_2                          // do not enter LoopL
LoopBeginL_1:


/******************************************/
/* Unrolled Loop 1/2 - Begin              */
/******************************************/

label_0013: // LoopCopy1 


/* Begin Each Unroll: Check VGPR.checkin for INT8 LW */


	;; [unrolled: 1-line block ×3, first 2 shown]
/* iter 0 */

/*  grEndMfmaIndex:5, lwStartMfmaIndex:55, lwEndMfmaIndex:60  */
/*  numMfmaForLR:8, barrierMfmaIndex:63 */
/*  mfmaIndex:0  */
_buffer_load_b128 v[vgprG2LA+0:vgprG2LA+0+3], v[vgprGlobalReadOffsetA+0], s[sgprSrdA:sgprSrdA+3], 0, offen offset:0 // G -> Reg 0_0_0_0
s_waitcnt lgkmcnt(0)                               // lgkmcnt=0 vmcnt=-1wait for prior local read local write old=0, new=0 newLW=0 newLR=0
/* pack scheduling: packAIdx:3, packBIdx:3 */
_v_lshl_or_b32 v[vgprValuA_X0_I0+0], v47, 0x8, v[vgprValuA_X0_I0+0] // pack two int8 Vgpr to one half Vgpr
_v_lshl_or_b32 v48, v49, 0x8, v48                  // pack two int8 Vgpr to one half Vgpr
v_or_b32 v[vgprValuA_X0_I0+0], v[vgprValuA_X0_I0+0], v48 // pack two half Vgpr to one Vgpr
_v_lshl_or_b32 v[vgprValuB_X0_I0+0], v56, 0x8, v[vgprValuB_X0_I0+0] // pack two int8 Vgpr to one half Vgpr
_v_lshl_or_b32 v57, v58, 0x8, v57                  // pack two int8 Vgpr to one half Vgpr
v_or_b32 v[vgprValuB_X0_I0+0], v[vgprValuB_X0_I0+0], v57 // pack two half Vgpr to one Vgpr
_v_lshl_or_b32 v[vgprValuA_X0_I0+1], v50, 0x8, v[vgprValuA_X0_I0+1] // pack two int8 Vgpr to one half Vgpr
_v_lshl_or_b32 v51, v52, 0x8, v51                  // pack two int8 Vgpr to one half Vgpr
v_or_b32 v[vgprValuA_X0_I0+1], v[vgprValuA_X0_I0+1], v51 // pack two half Vgpr to one Vgpr
v_mfma_i32_16x16x16i8 a[0+0:3+0], v[vgprValuA_X0_I0+0+0+0], v[vgprValuB_X0_I0+0+0+0], a[0:3]
/*  mfmaIndex:1  */
_ds_load_u8 v[vgprValuA_X1_I0+0], v[vgprLocalReadAddrA] offset:1536 // L -> Reg lro=1536 swapByteOffset=0 ti=32 vIdx=0 rIdx=0 oIdx=0 buffer=1 iui=0
_ds_load_u8 v65, v[vgprLocalReadAddrA] offset:1632 // L -> Reg lro=1536 swapByteOffset=0 ti=32 vIdx=0 rIdx=1 oIdx=0 buffer=1 iui=0
_ds_load_u8_d16_hi v66, v[vgprLocalReadAddrA] offset:1728 // L -> Reg lro=1536 swapByteOffset=0 ti=32 vIdx=0 rIdx=2 oIdx=0 buffer=1 iui=0
_buffer_load_b128 v[vgprG2LA+4:vgprG2LA+4+3], v[vgprGlobalReadOffsetA+1], s[sgprSrdA:sgprSrdA+3], 0, offen offset:0 // G -> Reg 1_0_0_0
/* pack scheduling: packAIdx:6, packBIdx:3 */
_v_lshl_or_b32 v[vgprValuA_X0_I0+2], v53, 0x8, v[vgprValuA_X0_I0+2] // pack two int8 Vgpr to one half Vgpr
_v_lshl_or_b32 v54, v55, 0x8, v54                  // pack two int8 Vgpr to one half Vgpr
v_or_b32 v[vgprValuA_X0_I0+2], v[vgprValuA_X0_I0+2], v54 // pack two half Vgpr to one Vgpr
_v_lshl_or_b32 v[vgprValuB_X0_I0+1], v59, 0x8, v[vgprValuB_X0_I0+1] // pack two int8 Vgpr to one half Vgpr
_v_lshl_or_b32 v60, v61, 0x8, v60                  // pack two int8 Vgpr to one half Vgpr
v_or_b32 v[vgprValuB_X0_I0+1], v[vgprValuB_X0_I0+1], v60 // pack two half Vgpr to one Vgpr
v_mfma_i32_16x16x16i8 a[4+0:7+0], v[vgprValuA_X0_I0+1+0+0], v[vgprValuB_X0_I0+0+0+0], a[4:7]
/*  mfmaIndex:2  */
_ds_load_u8_d16_hi v67, v[vgprLocalReadAddrA] offset:1824 // L -> Reg lro=1536 swapByteOffset=0 ti=32 vIdx=0 rIdx=3 oIdx=0 buffer=1 iui=0
_ds_load_u8 v[vgprValuB_X1_I0+0], v[vgprLocalReadAddrB] offset:1536 // L -> Reg lro=1536 swapByteOffset=0 ti=32 vIdx=0 rIdx=0 oIdx=0 buffer=1 iui=0
_ds_load_u8 v74, v[vgprLocalReadAddrB] offset:1632 // L -> Reg lro=1536 swapByteOffset=0 ti=32 vIdx=0 rIdx=1 oIdx=0 buffer=1 iui=0
_buffer_load_b128 v[vgprG2LA+8:vgprG2LA+8+3], v[vgprGlobalReadOffsetA+2], s[sgprSrdA:sgprSrdA+3], 0, offen offset:0 // G -> Reg 2_0_0_0
/* pack scheduling: packAIdx:9, packBIdx:3 */
_v_lshl_or_b32 v[vgprValuB_X0_I0+2], v62, 0x8, v[vgprValuB_X0_I0+2] // pack two int8 Vgpr to one half Vgpr
_v_lshl_or_b32 v63, v64, 0x8, v63                  // pack two int8 Vgpr to one half Vgpr
v_or_b32 v[vgprValuB_X0_I0+2], v[vgprValuB_X0_I0+2], v63 // pack two half Vgpr to one Vgpr
v_mfma_i32_16x16x16i8 a[8+0:11+0], v[vgprValuA_X0_I0+2+0+0], v[vgprValuB_X0_I0+0+0+0], a[8:11]
/*  mfmaIndex:3  */
_ds_load_u8_d16_hi v75, v[vgprLocalReadAddrB] offset:1728 // L -> Reg lro=1536 swapByteOffset=0 ti=32 vIdx=0 rIdx=2 oIdx=0 buffer=1 iui=0
_ds_load_u8_d16_hi v76, v[vgprLocalReadAddrB] offset:1824 // L -> Reg lro=1536 swapByteOffset=0 ti=32 vIdx=0 rIdx=3 oIdx=0 buffer=1 iui=0
_ds_load_u8 v[vgprValuA_X1_I0+1], v[vgprLocalReadAddrA] offset:1568 // L -> Reg lro=1536 swapByteOffset=0 ti=32 vIdx=1 rIdx=0 oIdx=0 buffer=1 iui=0
_buffer_load_b128 v[vgprG2LB+0:vgprG2LB+0+3], v[vgprGlobalReadOffsetB+0], s[sgprSrdB:sgprSrdB+3], 0, offen offset:0 // G -> Reg 0_0_0_0
v_mfma_i32_16x16x16i8 a[20+0:23+0], v[vgprValuA_X0_I0+2+0+0], v[vgprValuB_X0_I0+1+0+0], a[20:23]
/*  mfmaIndex:4  */
_ds_load_u8 v68, v[vgprLocalReadAddrA] offset:1664 // L -> Reg lro=1536 swapByteOffset=0 ti=32 vIdx=1 rIdx=1 oIdx=0 buffer=1 iui=0
_ds_load_u8_d16_hi v69, v[vgprLocalReadAddrA] offset:1760 // L -> Reg lro=1536 swapByteOffset=0 ti=32 vIdx=1 rIdx=2 oIdx=0 buffer=1 iui=0
_ds_load_u8_d16_hi v70, v[vgprLocalReadAddrA] offset:1856 // L -> Reg lro=1536 swapByteOffset=0 ti=32 vIdx=1 rIdx=3 oIdx=0 buffer=1 iui=0
_buffer_load_b128 v[vgprG2LB+4:vgprG2LB+4+3], v[vgprGlobalReadOffsetB+1], s[sgprSrdB:sgprSrdB+3], 0, offen offset:0 // G -> Reg 1_0_0_0
v_mfma_i32_16x16x16i8 a[16+0:19+0], v[vgprValuA_X0_I0+1+0+0], v[vgprValuB_X0_I0+1+0+0], a[16:19]
/*  mfmaIndex:5  */
_ds_load_u8 v[vgprValuA_X1_I0+2], v[vgprLocalReadAddrA] offset:1600 // L -> Reg lro=1536 swapByteOffset=0 ti=32 vIdx=2 rIdx=0 oIdx=0 buffer=1 iui=0
_ds_load_u8 v71, v[vgprLocalReadAddrA] offset:1696 // L -> Reg lro=1536 swapByteOffset=0 ti=32 vIdx=2 rIdx=1 oIdx=0 buffer=1 iui=0
_ds_load_u8_d16_hi v72, v[vgprLocalReadAddrA] offset:1792 // L -> Reg lro=1536 swapByteOffset=0 ti=32 vIdx=2 rIdx=2 oIdx=0 buffer=1 iui=0
_buffer_load_b128 v[vgprG2LB+8:vgprG2LB+8+3], v[vgprGlobalReadOffsetB+2], s[sgprSrdB:sgprSrdB+3], 0, offen offset:0 // G -> Reg 2_0_0_0
v_mfma_i32_16x16x16i8 a[12+0:15+0], v[vgprValuA_X0_I0+0+0+0], v[vgprValuB_X0_I0+1+0+0], a[12:15]
/*  mfmaIndex:6  */
_ds_load_u8_d16_hi v73, v[vgprLocalReadAddrA] offset:1888 // L -> Reg lro=1536 swapByteOffset=0 ti=32 vIdx=2 rIdx=3 oIdx=0 buffer=1 iui=0
_ds_load_u8 v[vgprValuB_X1_I0+1], v[vgprLocalReadAddrB] offset:1568 // L -> Reg lro=1536 swapByteOffset=0 ti=32 vIdx=1 rIdx=0 oIdx=0 buffer=1 iui=0
_ds_load_u8 v77, v[vgprLocalReadAddrB] offset:1664 // L -> Reg lro=1536 swapByteOffset=0 ti=32 vIdx=1 rIdx=1 oIdx=0 buffer=1 iui=0

/* global read inc A loopL */
s_add_u32 s[sgprSrdA+0], s[sgprSrdA+0], s[sgprGlobalReadIncsA+0] // gra SRD += inc(lower)
s_addc_u32  s[sgprSrdA+1], s[sgprSrdA+1], 0        // gra SRD += inc(upper)
s_sub_u32 s[sgprShadowLimitA+0], s[sgprShadowLimitA+0], s[sgprGlobalReadIncsA+0] // limit -= inc)
v_mfma_i32_16x16x16i8 a[24+0:27+0], v[vgprValuA_X0_I0+0+0+0], v[vgprValuB_X0_I0+2+0+0], a[24:27]
/*  mfmaIndex:7  */
_ds_load_u8_d16_hi v78, v[vgprLocalReadAddrB] offset:1760 // L -> Reg lro=1536 swapByteOffset=0 ti=32 vIdx=1 rIdx=2 oIdx=0 buffer=1 iui=0
_ds_load_u8_d16_hi v79, v[vgprLocalReadAddrB] offset:1856 // L -> Reg lro=1536 swapByteOffset=0 ti=32 vIdx=1 rIdx=3 oIdx=0 buffer=1 iui=0
_ds_load_u8 v[vgprValuB_X1_I0+2], v[vgprLocalReadAddrB] offset:1600 // L -> Reg lro=1536 swapByteOffset=0 ti=32 vIdx=2 rIdx=0 oIdx=0 buffer=1 iui=0
s_subb_u32 s[sgprShadowLimitA+1], s[sgprShadowLimitA+1], 0 // limit -= inc)
s_cmp_eq_u32 s[sgprShadowLimitA+1], 0              // are we within 2^32?
s_cmov_b32 s[sgprSrdA+2], s[sgprShadowLimitA+0]    // Move shadow to real if we are within 2^32
v_mfma_i32_16x16x16i8 a[28+0:31+0], v[vgprValuA_X0_I0+1+0+0], v[vgprValuB_X0_I0+2+0+0], a[28:31]
/*  mfmaIndex:8  */
_ds_load_u8 v80, v[vgprLocalReadAddrB] offset:1696 // L -> Reg lro=1536 swapByteOffset=0 ti=32 vIdx=2 rIdx=1 oIdx=0 buffer=1 iui=0
_ds_load_u8_d16_hi v81, v[vgprLocalReadAddrB] offset:1792 // L -> Reg lro=1536 swapByteOffset=0 ti=32 vIdx=2 rIdx=2 oIdx=0 buffer=1 iui=0
_ds_load_u8_d16_hi v82, v[vgprLocalReadAddrB] offset:1888 // L -> Reg lro=1536 swapByteOffset=0 ti=32 vIdx=2 rIdx=3 oIdx=0 buffer=1 iui=0

/* global read inc B loopL */
s_add_u32 s[sgprSrdB+0], s[sgprSrdB+0], s[sgprGlobalReadIncsB+0] // gra SRD += inc(lower)
s_addc_u32  s[sgprSrdB+1], s[sgprSrdB+1], 0        // gra SRD += inc(upper)
s_sub_u32 s[sgprShadowLimitB+0], s[sgprShadowLimitB+0], s[sgprGlobalReadIncsB+0] // limit -= inc)
v_mfma_i32_16x16x16i8 a[32+0:35+0], v[vgprValuA_X0_I0+2+0+0], v[vgprValuB_X0_I0+2+0+0], a[32:35]
/* numPrefetchIter=0 */
/* dataAtIterA=-1 numReadsIterA=1 skipReadsIterA=1 readsPerIterA=12 */
/* dataAtIterB=-1 numReadsIterB=1 skipReadsIterB=1 readsPerIterB=12 */


/* iter 1 */

/*  grEndMfmaIndex:5, lwStartMfmaIndex:55, lwEndMfmaIndex:60  */
/*  numMfmaForLR:8, barrierMfmaIndex:63 */
/*  mfmaIndex:9  */
_ds_load_u8 v[vgprValuA_X0_I0+0], v[vgprLocalReadAddrA] offset:3072 // L -> Reg lro=3072 swapByteOffset=0 ti=32 vIdx=0 rIdx=0 oIdx=0 buffer=0 iui=0
_ds_load_u8 v47, v[vgprLocalReadAddrA] offset:3168 // L -> Reg lro=3072 swapByteOffset=0 ti=32 vIdx=0 rIdx=1 oIdx=0 buffer=0 iui=0
_ds_load_u8_d16_hi v48, v[vgprLocalReadAddrA] offset:3264 // L -> Reg lro=3072 swapByteOffset=0 ti=32 vIdx=0 rIdx=2 oIdx=0 buffer=0 iui=0
s_subb_u32 s[sgprShadowLimitB+1], s[sgprShadowLimitB+1], 0 // limit -= inc)
s_cmp_eq_u32 s[sgprShadowLimitB+1], 0              // are we within 2^32?
s_cmov_b32 s[sgprSrdB+2], s[sgprShadowLimitB+0]    // Move shadow to real if we are within 2^32
s_waitcnt lgkmcnt(3)                               // lgkmcnt=0 vmcnt=-1wait for prior local read local write old=0, new=3 newLW=0 newLR=3
/* pack scheduling: packAIdx:3, packBIdx:3 */
_v_lshl_or_b32 v[vgprValuA_X1_I0+0], v65, 0x8, v[vgprValuA_X1_I0+0] // pack two int8 Vgpr to one half Vgpr
_v_lshl_or_b32 v66, v67, 0x8, v66                  // pack two int8 Vgpr to one half Vgpr
v_or_b32 v[vgprValuA_X1_I0+0], v[vgprValuA_X1_I0+0], v66 // pack two half Vgpr to one Vgpr
_v_lshl_or_b32 v[vgprValuB_X1_I0+0], v74, 0x8, v[vgprValuB_X1_I0+0] // pack two int8 Vgpr to one half Vgpr
_v_lshl_or_b32 v75, v76, 0x8, v75                  // pack two int8 Vgpr to one half Vgpr
v_or_b32 v[vgprValuB_X1_I0+0], v[vgprValuB_X1_I0+0], v75 // pack two half Vgpr to one Vgpr
_v_lshl_or_b32 v[vgprValuA_X1_I0+1], v68, 0x8, v[vgprValuA_X1_I0+1] // pack two int8 Vgpr to one half Vgpr
_v_lshl_or_b32 v69, v70, 0x8, v69                  // pack two int8 Vgpr to one half Vgpr
v_or_b32 v[vgprValuA_X1_I0+1], v[vgprValuA_X1_I0+1], v69 // pack two half Vgpr to one Vgpr
v_mfma_i32_16x16x16i8 a[0+0:3+0], v[vgprValuA_X1_I0+0+0+0], v[vgprValuB_X1_I0+0+0+0], a[0:3]
/*  mfmaIndex:10  */
_ds_load_u8_d16_hi v49, v[vgprLocalReadAddrA] offset:3360 // L -> Reg lro=3072 swapByteOffset=0 ti=32 vIdx=0 rIdx=3 oIdx=0 buffer=0 iui=0
_ds_load_u8 v[vgprValuB_X0_I0+0], v[vgprLocalReadAddrB] offset:3072 // L -> Reg lro=3072 swapByteOffset=0 ti=32 vIdx=0 rIdx=0 oIdx=0 buffer=0 iui=0
_ds_load_u8 v56, v[vgprLocalReadAddrB] offset:3168 // L -> Reg lro=3072 swapByteOffset=0 ti=32 vIdx=0 rIdx=1 oIdx=0 buffer=0 iui=0
/* pack scheduling: packAIdx:6, packBIdx:3 */
_v_lshl_or_b32 v[vgprValuA_X1_I0+2], v71, 0x8, v[vgprValuA_X1_I0+2] // pack two int8 Vgpr to one half Vgpr
_v_lshl_or_b32 v72, v73, 0x8, v72                  // pack two int8 Vgpr to one half Vgpr
v_or_b32 v[vgprValuA_X1_I0+2], v[vgprValuA_X1_I0+2], v72 // pack two half Vgpr to one Vgpr
_v_lshl_or_b32 v[vgprValuB_X1_I0+1], v77, 0x8, v[vgprValuB_X1_I0+1] // pack two int8 Vgpr to one half Vgpr
_v_lshl_or_b32 v78, v79, 0x8, v78                  // pack two int8 Vgpr to one half Vgpr
v_or_b32 v[vgprValuB_X1_I0+1], v[vgprValuB_X1_I0+1], v78 // pack two half Vgpr to one Vgpr
v_mfma_i32_16x16x16i8 a[4+0:7+0], v[vgprValuA_X1_I0+1+0+0], v[vgprValuB_X1_I0+0+0+0], a[4:7]
/*  mfmaIndex:11  */
_ds_load_u8_d16_hi v57, v[vgprLocalReadAddrB] offset:3264 // L -> Reg lro=3072 swapByteOffset=0 ti=32 vIdx=0 rIdx=2 oIdx=0 buffer=0 iui=0
_ds_load_u8_d16_hi v58, v[vgprLocalReadAddrB] offset:3360 // L -> Reg lro=3072 swapByteOffset=0 ti=32 vIdx=0 rIdx=3 oIdx=0 buffer=0 iui=0
_ds_load_u8 v[vgprValuA_X0_I0+1], v[vgprLocalReadAddrA] offset:3104 // L -> Reg lro=3072 swapByteOffset=0 ti=32 vIdx=1 rIdx=0 oIdx=0 buffer=0 iui=0
/* pack scheduling: packAIdx:9, packBIdx:3 */
_v_lshl_or_b32 v[vgprValuB_X1_I0+2], v80, 0x8, v[vgprValuB_X1_I0+2] // pack two int8 Vgpr to one half Vgpr
_v_lshl_or_b32 v81, v82, 0x8, v81                  // pack two int8 Vgpr to one half Vgpr
v_or_b32 v[vgprValuB_X1_I0+2], v[vgprValuB_X1_I0+2], v81 // pack two half Vgpr to one Vgpr
v_mfma_i32_16x16x16i8 a[8+0:11+0], v[vgprValuA_X1_I0+2+0+0], v[vgprValuB_X1_I0+0+0+0], a[8:11]
/*  mfmaIndex:12  */
_ds_load_u8 v50, v[vgprLocalReadAddrA] offset:3200 // L -> Reg lro=3072 swapByteOffset=0 ti=32 vIdx=1 rIdx=1 oIdx=0 buffer=0 iui=0
_ds_load_u8_d16_hi v51, v[vgprLocalReadAddrA] offset:3296 // L -> Reg lro=3072 swapByteOffset=0 ti=32 vIdx=1 rIdx=2 oIdx=0 buffer=0 iui=0
_ds_load_u8_d16_hi v52, v[vgprLocalReadAddrA] offset:3392 // L -> Reg lro=3072 swapByteOffset=0 ti=32 vIdx=1 rIdx=3 oIdx=0 buffer=0 iui=0
v_mfma_i32_16x16x16i8 a[20+0:23+0], v[vgprValuA_X1_I0+2+0+0], v[vgprValuB_X1_I0+1+0+0], a[20:23]
/*  mfmaIndex:13  */
_ds_load_u8 v[vgprValuA_X0_I0+2], v[vgprLocalReadAddrA] offset:3136 // L -> Reg lro=3072 swapByteOffset=0 ti=32 vIdx=2 rIdx=0 oIdx=0 buffer=0 iui=0
_ds_load_u8 v53, v[vgprLocalReadAddrA] offset:3232 // L -> Reg lro=3072 swapByteOffset=0 ti=32 vIdx=2 rIdx=1 oIdx=0 buffer=0 iui=0
_ds_load_u8_d16_hi v54, v[vgprLocalReadAddrA] offset:3328 // L -> Reg lro=3072 swapByteOffset=0 ti=32 vIdx=2 rIdx=2 oIdx=0 buffer=0 iui=0
v_mfma_i32_16x16x16i8 a[16+0:19+0], v[vgprValuA_X1_I0+1+0+0], v[vgprValuB_X1_I0+1+0+0], a[16:19]
/*  mfmaIndex:14  */
_ds_load_u8_d16_hi v55, v[vgprLocalReadAddrA] offset:3424 // L -> Reg lro=3072 swapByteOffset=0 ti=32 vIdx=2 rIdx=3 oIdx=0 buffer=0 iui=0
_ds_load_u8 v[vgprValuB_X0_I0+1], v[vgprLocalReadAddrB] offset:3104 // L -> Reg lro=3072 swapByteOffset=0 ti=32 vIdx=1 rIdx=0 oIdx=0 buffer=0 iui=0
_ds_load_u8 v59, v[vgprLocalReadAddrB] offset:3200 // L -> Reg lro=3072 swapByteOffset=0 ti=32 vIdx=1 rIdx=1 oIdx=0 buffer=0 iui=0
v_mfma_i32_16x16x16i8 a[12+0:15+0], v[vgprValuA_X1_I0+0+0+0], v[vgprValuB_X1_I0+1+0+0], a[12:15]
/*  mfmaIndex:15  */
_ds_load_u8_d16_hi v60, v[vgprLocalReadAddrB] offset:3296 // L -> Reg lro=3072 swapByteOffset=0 ti=32 vIdx=1 rIdx=2 oIdx=0 buffer=0 iui=0
_ds_load_u8_d16_hi v61, v[vgprLocalReadAddrB] offset:3392 // L -> Reg lro=3072 swapByteOffset=0 ti=32 vIdx=1 rIdx=3 oIdx=0 buffer=0 iui=0
v_mfma_i32_16x16x16i8 a[24+0:27+0], v[vgprValuA_X1_I0+0+0+0], v[vgprValuB_X1_I0+2+0+0], a[24:27]
/*  mfmaIndex:16  */
_ds_load_u8 v[vgprValuB_X0_I0+2], v[vgprLocalReadAddrB] offset:3136 // L -> Reg lro=3072 swapByteOffset=0 ti=32 vIdx=2 rIdx=0 oIdx=0 buffer=0 iui=0
_ds_load_u8 v62, v[vgprLocalReadAddrB] offset:3232 // L -> Reg lro=3072 swapByteOffset=0 ti=32 vIdx=2 rIdx=1 oIdx=0 buffer=0 iui=0
v_mfma_i32_16x16x16i8 a[28+0:31+0], v[vgprValuA_X1_I0+1+0+0], v[vgprValuB_X1_I0+2+0+0], a[28:31]
/*  mfmaIndex:17  */
_ds_load_u8_d16_hi v63, v[vgprLocalReadAddrB] offset:3328 // L -> Reg lro=3072 swapByteOffset=0 ti=32 vIdx=2 rIdx=2 oIdx=0 buffer=0 iui=0
_ds_load_u8_d16_hi v64, v[vgprLocalReadAddrB] offset:3424 // L -> Reg lro=3072 swapByteOffset=0 ti=32 vIdx=2 rIdx=3 oIdx=0 buffer=0 iui=0
/* localReadsVacancy: latencyLeft 1 */
v_mfma_i32_16x16x16i8 a[32+0:35+0], v[vgprValuA_X1_I0+2+0+0], v[vgprValuB_X1_I0+2+0+0], a[32:35]
/* numPrefetchIter=0 */
/* dataAtIterA=0 numReadsIterA=2 skipReadsIterA=1 readsPerIterA=12 */
/* dataAtIterB=0 numReadsIterB=2 skipReadsIterB=1 readsPerIterB=12 */


/* iter 2 */

/*  grEndMfmaIndex:5, lwStartMfmaIndex:55, lwEndMfmaIndex:60  */
/*  numMfmaForLR:8, barrierMfmaIndex:63 */
/*  mfmaIndex:18  */
_ds_load_u8 v[vgprValuA_X1_I0+0], v[vgprLocalReadAddrA] offset:4608 // L -> Reg lro=4608 swapByteOffset=0 ti=32 vIdx=0 rIdx=0 oIdx=0 buffer=1 iui=0
_ds_load_u8 v65, v[vgprLocalReadAddrA] offset:4704 // L -> Reg lro=4608 swapByteOffset=0 ti=32 vIdx=0 rIdx=1 oIdx=0 buffer=1 iui=0
_ds_load_u8_d16_hi v66, v[vgprLocalReadAddrA] offset:4800 // L -> Reg lro=4608 swapByteOffset=0 ti=32 vIdx=0 rIdx=2 oIdx=0 buffer=1 iui=0
s_waitcnt lgkmcnt(3)                               // lgkmcnt=0 vmcnt=-1wait for prior local read local write old=0, new=3 newLW=0 newLR=3
/* pack scheduling: packAIdx:3, packBIdx:3 */
_v_lshl_or_b32 v[vgprValuA_X0_I0+0], v47, 0x8, v[vgprValuA_X0_I0+0] // pack two int8 Vgpr to one half Vgpr
_v_lshl_or_b32 v48, v49, 0x8, v48                  // pack two int8 Vgpr to one half Vgpr
v_or_b32 v[vgprValuA_X0_I0+0], v[vgprValuA_X0_I0+0], v48 // pack two half Vgpr to one Vgpr
_v_lshl_or_b32 v[vgprValuB_X0_I0+0], v56, 0x8, v[vgprValuB_X0_I0+0] // pack two int8 Vgpr to one half Vgpr
_v_lshl_or_b32 v57, v58, 0x8, v57                  // pack two int8 Vgpr to one half Vgpr
v_or_b32 v[vgprValuB_X0_I0+0], v[vgprValuB_X0_I0+0], v57 // pack two half Vgpr to one Vgpr
_v_lshl_or_b32 v[vgprValuA_X0_I0+1], v50, 0x8, v[vgprValuA_X0_I0+1] // pack two int8 Vgpr to one half Vgpr
_v_lshl_or_b32 v51, v52, 0x8, v51                  // pack two int8 Vgpr to one half Vgpr
v_or_b32 v[vgprValuA_X0_I0+1], v[vgprValuA_X0_I0+1], v51 // pack two half Vgpr to one Vgpr
v_mfma_i32_16x16x16i8 a[0+0:3+0], v[vgprValuA_X0_I0+0+0+0], v[vgprValuB_X0_I0+0+0+0], a[0:3]
/*  mfmaIndex:19  */
_ds_load_u8_d16_hi v67, v[vgprLocalReadAddrA] offset:4896 // L -> Reg lro=4608 swapByteOffset=0 ti=32 vIdx=0 rIdx=3 oIdx=0 buffer=1 iui=0
_ds_load_u8 v[vgprValuB_X1_I0+0], v[vgprLocalReadAddrB] offset:4608 // L -> Reg lro=4608 swapByteOffset=0 ti=32 vIdx=0 rIdx=0 oIdx=0 buffer=1 iui=0
_ds_load_u8 v74, v[vgprLocalReadAddrB] offset:4704 // L -> Reg lro=4608 swapByteOffset=0 ti=32 vIdx=0 rIdx=1 oIdx=0 buffer=1 iui=0
/* pack scheduling: packAIdx:6, packBIdx:3 */
_v_lshl_or_b32 v[vgprValuA_X0_I0+2], v53, 0x8, v[vgprValuA_X0_I0+2] // pack two int8 Vgpr to one half Vgpr
_v_lshl_or_b32 v54, v55, 0x8, v54                  // pack two int8 Vgpr to one half Vgpr
v_or_b32 v[vgprValuA_X0_I0+2], v[vgprValuA_X0_I0+2], v54 // pack two half Vgpr to one Vgpr
_v_lshl_or_b32 v[vgprValuB_X0_I0+1], v59, 0x8, v[vgprValuB_X0_I0+1] // pack two int8 Vgpr to one half Vgpr
_v_lshl_or_b32 v60, v61, 0x8, v60                  // pack two int8 Vgpr to one half Vgpr
v_or_b32 v[vgprValuB_X0_I0+1], v[vgprValuB_X0_I0+1], v60 // pack two half Vgpr to one Vgpr
v_mfma_i32_16x16x16i8 a[4+0:7+0], v[vgprValuA_X0_I0+1+0+0], v[vgprValuB_X0_I0+0+0+0], a[4:7]
/*  mfmaIndex:20  */
_ds_load_u8_d16_hi v75, v[vgprLocalReadAddrB] offset:4800 // L -> Reg lro=4608 swapByteOffset=0 ti=32 vIdx=0 rIdx=2 oIdx=0 buffer=1 iui=0
_ds_load_u8_d16_hi v76, v[vgprLocalReadAddrB] offset:4896 // L -> Reg lro=4608 swapByteOffset=0 ti=32 vIdx=0 rIdx=3 oIdx=0 buffer=1 iui=0
_ds_load_u8 v[vgprValuA_X1_I0+1], v[vgprLocalReadAddrA] offset:4640 // L -> Reg lro=4608 swapByteOffset=0 ti=32 vIdx=1 rIdx=0 oIdx=0 buffer=1 iui=0
/* pack scheduling: packAIdx:9, packBIdx:3 */
_v_lshl_or_b32 v[vgprValuB_X0_I0+2], v62, 0x8, v[vgprValuB_X0_I0+2] // pack two int8 Vgpr to one half Vgpr
_v_lshl_or_b32 v63, v64, 0x8, v63                  // pack two int8 Vgpr to one half Vgpr
v_or_b32 v[vgprValuB_X0_I0+2], v[vgprValuB_X0_I0+2], v63 // pack two half Vgpr to one Vgpr
v_mfma_i32_16x16x16i8 a[8+0:11+0], v[vgprValuA_X0_I0+2+0+0], v[vgprValuB_X0_I0+0+0+0], a[8:11]
/*  mfmaIndex:21  */
_ds_load_u8 v68, v[vgprLocalReadAddrA] offset:4736 // L -> Reg lro=4608 swapByteOffset=0 ti=32 vIdx=1 rIdx=1 oIdx=0 buffer=1 iui=0
_ds_load_u8_d16_hi v69, v[vgprLocalReadAddrA] offset:4832 // L -> Reg lro=4608 swapByteOffset=0 ti=32 vIdx=1 rIdx=2 oIdx=0 buffer=1 iui=0
_ds_load_u8_d16_hi v70, v[vgprLocalReadAddrA] offset:4928 // L -> Reg lro=4608 swapByteOffset=0 ti=32 vIdx=1 rIdx=3 oIdx=0 buffer=1 iui=0
v_mfma_i32_16x16x16i8 a[20+0:23+0], v[vgprValuA_X0_I0+2+0+0], v[vgprValuB_X0_I0+1+0+0], a[20:23]
/*  mfmaIndex:22  */
_ds_load_u8 v[vgprValuA_X1_I0+2], v[vgprLocalReadAddrA] offset:4672 // L -> Reg lro=4608 swapByteOffset=0 ti=32 vIdx=2 rIdx=0 oIdx=0 buffer=1 iui=0
_ds_load_u8 v71, v[vgprLocalReadAddrA] offset:4768 // L -> Reg lro=4608 swapByteOffset=0 ti=32 vIdx=2 rIdx=1 oIdx=0 buffer=1 iui=0
_ds_load_u8_d16_hi v72, v[vgprLocalReadAddrA] offset:4864 // L -> Reg lro=4608 swapByteOffset=0 ti=32 vIdx=2 rIdx=2 oIdx=0 buffer=1 iui=0
v_mfma_i32_16x16x16i8 a[16+0:19+0], v[vgprValuA_X0_I0+1+0+0], v[vgprValuB_X0_I0+1+0+0], a[16:19]
/*  mfmaIndex:23  */
_ds_load_u8_d16_hi v73, v[vgprLocalReadAddrA] offset:4960 // L -> Reg lro=4608 swapByteOffset=0 ti=32 vIdx=2 rIdx=3 oIdx=0 buffer=1 iui=0
_ds_load_u8 v[vgprValuB_X1_I0+1], v[vgprLocalReadAddrB] offset:4640 // L -> Reg lro=4608 swapByteOffset=0 ti=32 vIdx=1 rIdx=0 oIdx=0 buffer=1 iui=0
_ds_load_u8 v77, v[vgprLocalReadAddrB] offset:4736 // L -> Reg lro=4608 swapByteOffset=0 ti=32 vIdx=1 rIdx=1 oIdx=0 buffer=1 iui=0
v_mfma_i32_16x16x16i8 a[12+0:15+0], v[vgprValuA_X0_I0+0+0+0], v[vgprValuB_X0_I0+1+0+0], a[12:15]
/*  mfmaIndex:24  */
_ds_load_u8_d16_hi v78, v[vgprLocalReadAddrB] offset:4832 // L -> Reg lro=4608 swapByteOffset=0 ti=32 vIdx=1 rIdx=2 oIdx=0 buffer=1 iui=0
_ds_load_u8_d16_hi v79, v[vgprLocalReadAddrB] offset:4928 // L -> Reg lro=4608 swapByteOffset=0 ti=32 vIdx=1 rIdx=3 oIdx=0 buffer=1 iui=0
v_mfma_i32_16x16x16i8 a[24+0:27+0], v[vgprValuA_X0_I0+0+0+0], v[vgprValuB_X0_I0+2+0+0], a[24:27]
/*  mfmaIndex:25  */
_ds_load_u8 v[vgprValuB_X1_I0+2], v[vgprLocalReadAddrB] offset:4672 // L -> Reg lro=4608 swapByteOffset=0 ti=32 vIdx=2 rIdx=0 oIdx=0 buffer=1 iui=0
_ds_load_u8 v80, v[vgprLocalReadAddrB] offset:4768 // L -> Reg lro=4608 swapByteOffset=0 ti=32 vIdx=2 rIdx=1 oIdx=0 buffer=1 iui=0
v_mfma_i32_16x16x16i8 a[28+0:31+0], v[vgprValuA_X0_I0+1+0+0], v[vgprValuB_X0_I0+2+0+0], a[28:31]
/*  mfmaIndex:26  */
_ds_load_u8_d16_hi v81, v[vgprLocalReadAddrB] offset:4864 // L -> Reg lro=4608 swapByteOffset=0 ti=32 vIdx=2 rIdx=2 oIdx=0 buffer=1 iui=0
_ds_load_u8_d16_hi v82, v[vgprLocalReadAddrB] offset:4960 // L -> Reg lro=4608 swapByteOffset=0 ti=32 vIdx=2 rIdx=3 oIdx=0 buffer=1 iui=0
/* localReadsVacancy: latencyLeft 1 */
v_mfma_i32_16x16x16i8 a[32+0:35+0], v[vgprValuA_X0_I0+2+0+0], v[vgprValuB_X0_I0+2+0+0], a[32:35]
/* numPrefetchIter=0 */
/* dataAtIterA=1 numReadsIterA=3 skipReadsIterA=1 readsPerIterA=12 */
/* dataAtIterB=1 numReadsIterB=3 skipReadsIterB=1 readsPerIterB=12 */


/* iter 3 */

/*  grEndMfmaIndex:5, lwStartMfmaIndex:55, lwEndMfmaIndex:60  */
/*  numMfmaForLR:8, barrierMfmaIndex:63 */
/*  mfmaIndex:27  */
_ds_load_u8 v[vgprValuA_X0_I0+0], v[vgprLocalReadAddrA] offset:6144 // L -> Reg lro=6144 swapByteOffset=0 ti=32 vIdx=0 rIdx=0 oIdx=0 buffer=0 iui=0
_ds_load_u8 v47, v[vgprLocalReadAddrA] offset:6240 // L -> Reg lro=6144 swapByteOffset=0 ti=32 vIdx=0 rIdx=1 oIdx=0 buffer=0 iui=0
_ds_load_u8_d16_hi v48, v[vgprLocalReadAddrA] offset:6336 // L -> Reg lro=6144 swapByteOffset=0 ti=32 vIdx=0 rIdx=2 oIdx=0 buffer=0 iui=0
s_waitcnt lgkmcnt(3)                               // lgkmcnt=0 vmcnt=-1wait for prior local read local write old=0, new=3 newLW=0 newLR=3
/* pack scheduling: packAIdx:3, packBIdx:3 */
_v_lshl_or_b32 v[vgprValuA_X1_I0+0], v65, 0x8, v[vgprValuA_X1_I0+0] // pack two int8 Vgpr to one half Vgpr
_v_lshl_or_b32 v66, v67, 0x8, v66                  // pack two int8 Vgpr to one half Vgpr
v_or_b32 v[vgprValuA_X1_I0+0], v[vgprValuA_X1_I0+0], v66 // pack two half Vgpr to one Vgpr
_v_lshl_or_b32 v[vgprValuB_X1_I0+0], v74, 0x8, v[vgprValuB_X1_I0+0] // pack two int8 Vgpr to one half Vgpr
_v_lshl_or_b32 v75, v76, 0x8, v75                  // pack two int8 Vgpr to one half Vgpr
v_or_b32 v[vgprValuB_X1_I0+0], v[vgprValuB_X1_I0+0], v75 // pack two half Vgpr to one Vgpr
_v_lshl_or_b32 v[vgprValuA_X1_I0+1], v68, 0x8, v[vgprValuA_X1_I0+1] // pack two int8 Vgpr to one half Vgpr
_v_lshl_or_b32 v69, v70, 0x8, v69                  // pack two int8 Vgpr to one half Vgpr
v_or_b32 v[vgprValuA_X1_I0+1], v[vgprValuA_X1_I0+1], v69 // pack two half Vgpr to one Vgpr
v_mfma_i32_16x16x16i8 a[0+0:3+0], v[vgprValuA_X1_I0+0+0+0], v[vgprValuB_X1_I0+0+0+0], a[0:3]
/*  mfmaIndex:28  */
_ds_load_u8_d16_hi v49, v[vgprLocalReadAddrA] offset:6432 // L -> Reg lro=6144 swapByteOffset=0 ti=32 vIdx=0 rIdx=3 oIdx=0 buffer=0 iui=0
_ds_load_u8 v[vgprValuB_X0_I0+0], v[vgprLocalReadAddrB] offset:6144 // L -> Reg lro=6144 swapByteOffset=0 ti=32 vIdx=0 rIdx=0 oIdx=0 buffer=0 iui=0
_ds_load_u8 v56, v[vgprLocalReadAddrB] offset:6240 // L -> Reg lro=6144 swapByteOffset=0 ti=32 vIdx=0 rIdx=1 oIdx=0 buffer=0 iui=0
/* pack scheduling: packAIdx:6, packBIdx:3 */
_v_lshl_or_b32 v[vgprValuA_X1_I0+2], v71, 0x8, v[vgprValuA_X1_I0+2] // pack two int8 Vgpr to one half Vgpr
_v_lshl_or_b32 v72, v73, 0x8, v72                  // pack two int8 Vgpr to one half Vgpr
v_or_b32 v[vgprValuA_X1_I0+2], v[vgprValuA_X1_I0+2], v72 // pack two half Vgpr to one Vgpr
_v_lshl_or_b32 v[vgprValuB_X1_I0+1], v77, 0x8, v[vgprValuB_X1_I0+1] // pack two int8 Vgpr to one half Vgpr
_v_lshl_or_b32 v78, v79, 0x8, v78                  // pack two int8 Vgpr to one half Vgpr
v_or_b32 v[vgprValuB_X1_I0+1], v[vgprValuB_X1_I0+1], v78 // pack two half Vgpr to one Vgpr
v_mfma_i32_16x16x16i8 a[4+0:7+0], v[vgprValuA_X1_I0+1+0+0], v[vgprValuB_X1_I0+0+0+0], a[4:7]
/*  mfmaIndex:29  */
_ds_load_u8_d16_hi v57, v[vgprLocalReadAddrB] offset:6336 // L -> Reg lro=6144 swapByteOffset=0 ti=32 vIdx=0 rIdx=2 oIdx=0 buffer=0 iui=0
_ds_load_u8_d16_hi v58, v[vgprLocalReadAddrB] offset:6432 // L -> Reg lro=6144 swapByteOffset=0 ti=32 vIdx=0 rIdx=3 oIdx=0 buffer=0 iui=0
_ds_load_u8 v[vgprValuA_X0_I0+1], v[vgprLocalReadAddrA] offset:6176 // L -> Reg lro=6144 swapByteOffset=0 ti=32 vIdx=1 rIdx=0 oIdx=0 buffer=0 iui=0
/* pack scheduling: packAIdx:9, packBIdx:3 */
_v_lshl_or_b32 v[vgprValuB_X1_I0+2], v80, 0x8, v[vgprValuB_X1_I0+2] // pack two int8 Vgpr to one half Vgpr
_v_lshl_or_b32 v81, v82, 0x8, v81                  // pack two int8 Vgpr to one half Vgpr
v_or_b32 v[vgprValuB_X1_I0+2], v[vgprValuB_X1_I0+2], v81 // pack two half Vgpr to one Vgpr
v_mfma_i32_16x16x16i8 a[8+0:11+0], v[vgprValuA_X1_I0+2+0+0], v[vgprValuB_X1_I0+0+0+0], a[8:11]
/*  mfmaIndex:30  */
_ds_load_u8 v50, v[vgprLocalReadAddrA] offset:6272 // L -> Reg lro=6144 swapByteOffset=0 ti=32 vIdx=1 rIdx=1 oIdx=0 buffer=0 iui=0
_ds_load_u8_d16_hi v51, v[vgprLocalReadAddrA] offset:6368 // L -> Reg lro=6144 swapByteOffset=0 ti=32 vIdx=1 rIdx=2 oIdx=0 buffer=0 iui=0
_ds_load_u8_d16_hi v52, v[vgprLocalReadAddrA] offset:6464 // L -> Reg lro=6144 swapByteOffset=0 ti=32 vIdx=1 rIdx=3 oIdx=0 buffer=0 iui=0
v_mfma_i32_16x16x16i8 a[20+0:23+0], v[vgprValuA_X1_I0+2+0+0], v[vgprValuB_X1_I0+1+0+0], a[20:23]
/*  mfmaIndex:31  */
_ds_load_u8 v[vgprValuA_X0_I0+2], v[vgprLocalReadAddrA] offset:6208 // L -> Reg lro=6144 swapByteOffset=0 ti=32 vIdx=2 rIdx=0 oIdx=0 buffer=0 iui=0
_ds_load_u8 v53, v[vgprLocalReadAddrA] offset:6304 // L -> Reg lro=6144 swapByteOffset=0 ti=32 vIdx=2 rIdx=1 oIdx=0 buffer=0 iui=0
_ds_load_u8_d16_hi v54, v[vgprLocalReadAddrA] offset:6400 // L -> Reg lro=6144 swapByteOffset=0 ti=32 vIdx=2 rIdx=2 oIdx=0 buffer=0 iui=0
v_mfma_i32_16x16x16i8 a[16+0:19+0], v[vgprValuA_X1_I0+1+0+0], v[vgprValuB_X1_I0+1+0+0], a[16:19]
/*  mfmaIndex:32  */
_ds_load_u8_d16_hi v55, v[vgprLocalReadAddrA] offset:6496 // L -> Reg lro=6144 swapByteOffset=0 ti=32 vIdx=2 rIdx=3 oIdx=0 buffer=0 iui=0
_ds_load_u8 v[vgprValuB_X0_I0+1], v[vgprLocalReadAddrB] offset:6176 // L -> Reg lro=6144 swapByteOffset=0 ti=32 vIdx=1 rIdx=0 oIdx=0 buffer=0 iui=0
_ds_load_u8 v59, v[vgprLocalReadAddrB] offset:6272 // L -> Reg lro=6144 swapByteOffset=0 ti=32 vIdx=1 rIdx=1 oIdx=0 buffer=0 iui=0
v_mfma_i32_16x16x16i8 a[12+0:15+0], v[vgprValuA_X1_I0+0+0+0], v[vgprValuB_X1_I0+1+0+0], a[12:15]
/*  mfmaIndex:33  */
_ds_load_u8_d16_hi v60, v[vgprLocalReadAddrB] offset:6368 // L -> Reg lro=6144 swapByteOffset=0 ti=32 vIdx=1 rIdx=2 oIdx=0 buffer=0 iui=0
_ds_load_u8_d16_hi v61, v[vgprLocalReadAddrB] offset:6464 // L -> Reg lro=6144 swapByteOffset=0 ti=32 vIdx=1 rIdx=3 oIdx=0 buffer=0 iui=0
v_mfma_i32_16x16x16i8 a[24+0:27+0], v[vgprValuA_X1_I0+0+0+0], v[vgprValuB_X1_I0+2+0+0], a[24:27]
/*  mfmaIndex:34  */
_ds_load_u8 v[vgprValuB_X0_I0+2], v[vgprLocalReadAddrB] offset:6208 // L -> Reg lro=6144 swapByteOffset=0 ti=32 vIdx=2 rIdx=0 oIdx=0 buffer=0 iui=0
_ds_load_u8 v62, v[vgprLocalReadAddrB] offset:6304 // L -> Reg lro=6144 swapByteOffset=0 ti=32 vIdx=2 rIdx=1 oIdx=0 buffer=0 iui=0
v_mfma_i32_16x16x16i8 a[28+0:31+0], v[vgprValuA_X1_I0+1+0+0], v[vgprValuB_X1_I0+2+0+0], a[28:31]
/*  mfmaIndex:35  */
_ds_load_u8_d16_hi v63, v[vgprLocalReadAddrB] offset:6400 // L -> Reg lro=6144 swapByteOffset=0 ti=32 vIdx=2 rIdx=2 oIdx=0 buffer=0 iui=0
_ds_load_u8_d16_hi v64, v[vgprLocalReadAddrB] offset:6496 // L -> Reg lro=6144 swapByteOffset=0 ti=32 vIdx=2 rIdx=3 oIdx=0 buffer=0 iui=0
/* localReadsVacancy: latencyLeft 1 */
v_mfma_i32_16x16x16i8 a[32+0:35+0], v[vgprValuA_X1_I0+2+0+0], v[vgprValuB_X1_I0+2+0+0], a[32:35]
/* numPrefetchIter=0 */
/* dataAtIterA=2 numReadsIterA=4 skipReadsIterA=1 readsPerIterA=12 */
/* dataAtIterB=2 numReadsIterB=4 skipReadsIterB=1 readsPerIterB=12 */


/* iter 4 */

/*  grEndMfmaIndex:5, lwStartMfmaIndex:55, lwEndMfmaIndex:60  */
/*  numMfmaForLR:8, barrierMfmaIndex:63 */
/*  mfmaIndex:36  */
_ds_load_u8 v[vgprValuA_X1_I0+0], v[vgprLocalReadAddrA] offset:7680 // L -> Reg lro=7680 swapByteOffset=0 ti=32 vIdx=0 rIdx=0 oIdx=0 buffer=1 iui=0
_ds_load_u8 v65, v[vgprLocalReadAddrA] offset:7776 // L -> Reg lro=7680 swapByteOffset=0 ti=32 vIdx=0 rIdx=1 oIdx=0 buffer=1 iui=0
_ds_load_u8_d16_hi v66, v[vgprLocalReadAddrA] offset:7872 // L -> Reg lro=7680 swapByteOffset=0 ti=32 vIdx=0 rIdx=2 oIdx=0 buffer=1 iui=0
s_waitcnt lgkmcnt(3)                               // lgkmcnt=0 vmcnt=-1wait for prior local read local write old=0, new=3 newLW=0 newLR=3
/* pack scheduling: packAIdx:3, packBIdx:3 */
_v_lshl_or_b32 v[vgprValuA_X0_I0+0], v47, 0x8, v[vgprValuA_X0_I0+0] // pack two int8 Vgpr to one half Vgpr
_v_lshl_or_b32 v48, v49, 0x8, v48                  // pack two int8 Vgpr to one half Vgpr
v_or_b32 v[vgprValuA_X0_I0+0], v[vgprValuA_X0_I0+0], v48 // pack two half Vgpr to one Vgpr
_v_lshl_or_b32 v[vgprValuB_X0_I0+0], v56, 0x8, v[vgprValuB_X0_I0+0] // pack two int8 Vgpr to one half Vgpr
_v_lshl_or_b32 v57, v58, 0x8, v57                  // pack two int8 Vgpr to one half Vgpr
v_or_b32 v[vgprValuB_X0_I0+0], v[vgprValuB_X0_I0+0], v57 // pack two half Vgpr to one Vgpr
_v_lshl_or_b32 v[vgprValuA_X0_I0+1], v50, 0x8, v[vgprValuA_X0_I0+1] // pack two int8 Vgpr to one half Vgpr
_v_lshl_or_b32 v51, v52, 0x8, v51                  // pack two int8 Vgpr to one half Vgpr
v_or_b32 v[vgprValuA_X0_I0+1], v[vgprValuA_X0_I0+1], v51 // pack two half Vgpr to one Vgpr
v_mfma_i32_16x16x16i8 a[0+0:3+0], v[vgprValuA_X0_I0+0+0+0], v[vgprValuB_X0_I0+0+0+0], a[0:3]
/*  mfmaIndex:37  */
_ds_load_u8_d16_hi v67, v[vgprLocalReadAddrA] offset:7968 // L -> Reg lro=7680 swapByteOffset=0 ti=32 vIdx=0 rIdx=3 oIdx=0 buffer=1 iui=0
_ds_load_u8 v[vgprValuB_X1_I0+0], v[vgprLocalReadAddrB] offset:7680 // L -> Reg lro=7680 swapByteOffset=0 ti=32 vIdx=0 rIdx=0 oIdx=0 buffer=1 iui=0
_ds_load_u8 v74, v[vgprLocalReadAddrB] offset:7776 // L -> Reg lro=7680 swapByteOffset=0 ti=32 vIdx=0 rIdx=1 oIdx=0 buffer=1 iui=0
/* pack scheduling: packAIdx:6, packBIdx:3 */
_v_lshl_or_b32 v[vgprValuA_X0_I0+2], v53, 0x8, v[vgprValuA_X0_I0+2] // pack two int8 Vgpr to one half Vgpr
_v_lshl_or_b32 v54, v55, 0x8, v54                  // pack two int8 Vgpr to one half Vgpr
v_or_b32 v[vgprValuA_X0_I0+2], v[vgprValuA_X0_I0+2], v54 // pack two half Vgpr to one Vgpr
_v_lshl_or_b32 v[vgprValuB_X0_I0+1], v59, 0x8, v[vgprValuB_X0_I0+1] // pack two int8 Vgpr to one half Vgpr
_v_lshl_or_b32 v60, v61, 0x8, v60                  // pack two int8 Vgpr to one half Vgpr
v_or_b32 v[vgprValuB_X0_I0+1], v[vgprValuB_X0_I0+1], v60 // pack two half Vgpr to one Vgpr
v_mfma_i32_16x16x16i8 a[4+0:7+0], v[vgprValuA_X0_I0+1+0+0], v[vgprValuB_X0_I0+0+0+0], a[4:7]
/*  mfmaIndex:38  */
_ds_load_u8_d16_hi v75, v[vgprLocalReadAddrB] offset:7872 // L -> Reg lro=7680 swapByteOffset=0 ti=32 vIdx=0 rIdx=2 oIdx=0 buffer=1 iui=0
_ds_load_u8_d16_hi v76, v[vgprLocalReadAddrB] offset:7968 // L -> Reg lro=7680 swapByteOffset=0 ti=32 vIdx=0 rIdx=3 oIdx=0 buffer=1 iui=0
_ds_load_u8 v[vgprValuA_X1_I0+1], v[vgprLocalReadAddrA] offset:7712 // L -> Reg lro=7680 swapByteOffset=0 ti=32 vIdx=1 rIdx=0 oIdx=0 buffer=1 iui=0
/* pack scheduling: packAIdx:9, packBIdx:3 */
_v_lshl_or_b32 v[vgprValuB_X0_I0+2], v62, 0x8, v[vgprValuB_X0_I0+2] // pack two int8 Vgpr to one half Vgpr
_v_lshl_or_b32 v63, v64, 0x8, v63                  // pack two int8 Vgpr to one half Vgpr
v_or_b32 v[vgprValuB_X0_I0+2], v[vgprValuB_X0_I0+2], v63 // pack two half Vgpr to one Vgpr
v_mfma_i32_16x16x16i8 a[8+0:11+0], v[vgprValuA_X0_I0+2+0+0], v[vgprValuB_X0_I0+0+0+0], a[8:11]
/*  mfmaIndex:39  */
_ds_load_u8 v68, v[vgprLocalReadAddrA] offset:7808 // L -> Reg lro=7680 swapByteOffset=0 ti=32 vIdx=1 rIdx=1 oIdx=0 buffer=1 iui=0
_ds_load_u8_d16_hi v69, v[vgprLocalReadAddrA] offset:7904 // L -> Reg lro=7680 swapByteOffset=0 ti=32 vIdx=1 rIdx=2 oIdx=0 buffer=1 iui=0
_ds_load_u8_d16_hi v70, v[vgprLocalReadAddrA] offset:8000 // L -> Reg lro=7680 swapByteOffset=0 ti=32 vIdx=1 rIdx=3 oIdx=0 buffer=1 iui=0
v_mfma_i32_16x16x16i8 a[20+0:23+0], v[vgprValuA_X0_I0+2+0+0], v[vgprValuB_X0_I0+1+0+0], a[20:23]
/*  mfmaIndex:40  */
_ds_load_u8 v[vgprValuA_X1_I0+2], v[vgprLocalReadAddrA] offset:7744 // L -> Reg lro=7680 swapByteOffset=0 ti=32 vIdx=2 rIdx=0 oIdx=0 buffer=1 iui=0
_ds_load_u8 v71, v[vgprLocalReadAddrA] offset:7840 // L -> Reg lro=7680 swapByteOffset=0 ti=32 vIdx=2 rIdx=1 oIdx=0 buffer=1 iui=0
_ds_load_u8_d16_hi v72, v[vgprLocalReadAddrA] offset:7936 // L -> Reg lro=7680 swapByteOffset=0 ti=32 vIdx=2 rIdx=2 oIdx=0 buffer=1 iui=0
v_mfma_i32_16x16x16i8 a[16+0:19+0], v[vgprValuA_X0_I0+1+0+0], v[vgprValuB_X0_I0+1+0+0], a[16:19]
/*  mfmaIndex:41  */
_ds_load_u8_d16_hi v73, v[vgprLocalReadAddrA] offset:8032 // L -> Reg lro=7680 swapByteOffset=0 ti=32 vIdx=2 rIdx=3 oIdx=0 buffer=1 iui=0
_ds_load_u8 v[vgprValuB_X1_I0+1], v[vgprLocalReadAddrB] offset:7712 // L -> Reg lro=7680 swapByteOffset=0 ti=32 vIdx=1 rIdx=0 oIdx=0 buffer=1 iui=0
_ds_load_u8 v77, v[vgprLocalReadAddrB] offset:7808 // L -> Reg lro=7680 swapByteOffset=0 ti=32 vIdx=1 rIdx=1 oIdx=0 buffer=1 iui=0
v_mfma_i32_16x16x16i8 a[12+0:15+0], v[vgprValuA_X0_I0+0+0+0], v[vgprValuB_X0_I0+1+0+0], a[12:15]
/*  mfmaIndex:42  */
_ds_load_u8_d16_hi v78, v[vgprLocalReadAddrB] offset:7904 // L -> Reg lro=7680 swapByteOffset=0 ti=32 vIdx=1 rIdx=2 oIdx=0 buffer=1 iui=0
_ds_load_u8_d16_hi v79, v[vgprLocalReadAddrB] offset:8000 // L -> Reg lro=7680 swapByteOffset=0 ti=32 vIdx=1 rIdx=3 oIdx=0 buffer=1 iui=0
v_mfma_i32_16x16x16i8 a[24+0:27+0], v[vgprValuA_X0_I0+0+0+0], v[vgprValuB_X0_I0+2+0+0], a[24:27]
/*  mfmaIndex:43  */
_ds_load_u8 v[vgprValuB_X1_I0+2], v[vgprLocalReadAddrB] offset:7744 // L -> Reg lro=7680 swapByteOffset=0 ti=32 vIdx=2 rIdx=0 oIdx=0 buffer=1 iui=0
_ds_load_u8 v80, v[vgprLocalReadAddrB] offset:7840 // L -> Reg lro=7680 swapByteOffset=0 ti=32 vIdx=2 rIdx=1 oIdx=0 buffer=1 iui=0
v_mfma_i32_16x16x16i8 a[28+0:31+0], v[vgprValuA_X0_I0+1+0+0], v[vgprValuB_X0_I0+2+0+0], a[28:31]
/*  mfmaIndex:44  */
_ds_load_u8_d16_hi v81, v[vgprLocalReadAddrB] offset:7936 // L -> Reg lro=7680 swapByteOffset=0 ti=32 vIdx=2 rIdx=2 oIdx=0 buffer=1 iui=0
_ds_load_u8_d16_hi v82, v[vgprLocalReadAddrB] offset:8032 // L -> Reg lro=7680 swapByteOffset=0 ti=32 vIdx=2 rIdx=3 oIdx=0 buffer=1 iui=0
/* localReadsVacancy: latencyLeft 1 */
v_mfma_i32_16x16x16i8 a[32+0:35+0], v[vgprValuA_X0_I0+2+0+0], v[vgprValuB_X0_I0+2+0+0], a[32:35]
/* numPrefetchIter=0 */
/* dataAtIterA=3 numReadsIterA=5 skipReadsIterA=1 readsPerIterA=12 */
/* dataAtIterB=3 numReadsIterB=5 skipReadsIterB=1 readsPerIterB=12 */


/* iter 5 */

/*  grEndMfmaIndex:5, lwStartMfmaIndex:55, lwEndMfmaIndex:60  */
/*  numMfmaForLR:8, barrierMfmaIndex:63 */
/*  mfmaIndex:45  */
_ds_load_u8 v[vgprValuA_X0_I0+0], v[vgprLocalReadAddrA] offset:9216 // L -> Reg lro=9216 swapByteOffset=0 ti=32 vIdx=0 rIdx=0 oIdx=0 buffer=0 iui=0
_ds_load_u8 v47, v[vgprLocalReadAddrA] offset:9312 // L -> Reg lro=9216 swapByteOffset=0 ti=32 vIdx=0 rIdx=1 oIdx=0 buffer=0 iui=0
_ds_load_u8_d16_hi v48, v[vgprLocalReadAddrA] offset:9408 // L -> Reg lro=9216 swapByteOffset=0 ti=32 vIdx=0 rIdx=2 oIdx=0 buffer=0 iui=0
s_waitcnt lgkmcnt(3)                               // lgkmcnt=0 vmcnt=-1wait for prior local read local write old=0, new=3 newLW=0 newLR=3
/* pack scheduling: packAIdx:3, packBIdx:3 */
_v_lshl_or_b32 v[vgprValuA_X1_I0+0], v65, 0x8, v[vgprValuA_X1_I0+0] // pack two int8 Vgpr to one half Vgpr
_v_lshl_or_b32 v66, v67, 0x8, v66                  // pack two int8 Vgpr to one half Vgpr
v_or_b32 v[vgprValuA_X1_I0+0], v[vgprValuA_X1_I0+0], v66 // pack two half Vgpr to one Vgpr
_v_lshl_or_b32 v[vgprValuB_X1_I0+0], v74, 0x8, v[vgprValuB_X1_I0+0] // pack two int8 Vgpr to one half Vgpr
_v_lshl_or_b32 v75, v76, 0x8, v75                  // pack two int8 Vgpr to one half Vgpr
v_or_b32 v[vgprValuB_X1_I0+0], v[vgprValuB_X1_I0+0], v75 // pack two half Vgpr to one Vgpr
_v_lshl_or_b32 v[vgprValuA_X1_I0+1], v68, 0x8, v[vgprValuA_X1_I0+1] // pack two int8 Vgpr to one half Vgpr
_v_lshl_or_b32 v69, v70, 0x8, v69                  // pack two int8 Vgpr to one half Vgpr
v_or_b32 v[vgprValuA_X1_I0+1], v[vgprValuA_X1_I0+1], v69 // pack two half Vgpr to one Vgpr
v_mfma_i32_16x16x16i8 a[0+0:3+0], v[vgprValuA_X1_I0+0+0+0], v[vgprValuB_X1_I0+0+0+0], a[0:3]
/*  mfmaIndex:46  */
_ds_load_u8_d16_hi v49, v[vgprLocalReadAddrA] offset:9504 // L -> Reg lro=9216 swapByteOffset=0 ti=32 vIdx=0 rIdx=3 oIdx=0 buffer=0 iui=0
_ds_load_u8 v[vgprValuB_X0_I0+0], v[vgprLocalReadAddrB] offset:9216 // L -> Reg lro=9216 swapByteOffset=0 ti=32 vIdx=0 rIdx=0 oIdx=0 buffer=0 iui=0
_ds_load_u8 v56, v[vgprLocalReadAddrB] offset:9312 // L -> Reg lro=9216 swapByteOffset=0 ti=32 vIdx=0 rIdx=1 oIdx=0 buffer=0 iui=0
/* pack scheduling: packAIdx:6, packBIdx:3 */
_v_lshl_or_b32 v[vgprValuA_X1_I0+2], v71, 0x8, v[vgprValuA_X1_I0+2] // pack two int8 Vgpr to one half Vgpr
_v_lshl_or_b32 v72, v73, 0x8, v72                  // pack two int8 Vgpr to one half Vgpr
v_or_b32 v[vgprValuA_X1_I0+2], v[vgprValuA_X1_I0+2], v72 // pack two half Vgpr to one Vgpr
_v_lshl_or_b32 v[vgprValuB_X1_I0+1], v77, 0x8, v[vgprValuB_X1_I0+1] // pack two int8 Vgpr to one half Vgpr
_v_lshl_or_b32 v78, v79, 0x8, v78                  // pack two int8 Vgpr to one half Vgpr
v_or_b32 v[vgprValuB_X1_I0+1], v[vgprValuB_X1_I0+1], v78 // pack two half Vgpr to one Vgpr
v_mfma_i32_16x16x16i8 a[4+0:7+0], v[vgprValuA_X1_I0+1+0+0], v[vgprValuB_X1_I0+0+0+0], a[4:7]
/*  mfmaIndex:47  */
_ds_load_u8_d16_hi v57, v[vgprLocalReadAddrB] offset:9408 // L -> Reg lro=9216 swapByteOffset=0 ti=32 vIdx=0 rIdx=2 oIdx=0 buffer=0 iui=0
_ds_load_u8_d16_hi v58, v[vgprLocalReadAddrB] offset:9504 // L -> Reg lro=9216 swapByteOffset=0 ti=32 vIdx=0 rIdx=3 oIdx=0 buffer=0 iui=0
_ds_load_u8 v[vgprValuA_X0_I0+1], v[vgprLocalReadAddrA] offset:9248 // L -> Reg lro=9216 swapByteOffset=0 ti=32 vIdx=1 rIdx=0 oIdx=0 buffer=0 iui=0
/* pack scheduling: packAIdx:9, packBIdx:3 */
_v_lshl_or_b32 v[vgprValuB_X1_I0+2], v80, 0x8, v[vgprValuB_X1_I0+2] // pack two int8 Vgpr to one half Vgpr
_v_lshl_or_b32 v81, v82, 0x8, v81                  // pack two int8 Vgpr to one half Vgpr
v_or_b32 v[vgprValuB_X1_I0+2], v[vgprValuB_X1_I0+2], v81 // pack two half Vgpr to one Vgpr
v_mfma_i32_16x16x16i8 a[8+0:11+0], v[vgprValuA_X1_I0+2+0+0], v[vgprValuB_X1_I0+0+0+0], a[8:11]
/*  mfmaIndex:48  */
_ds_load_u8 v50, v[vgprLocalReadAddrA] offset:9344 // L -> Reg lro=9216 swapByteOffset=0 ti=32 vIdx=1 rIdx=1 oIdx=0 buffer=0 iui=0
_ds_load_u8_d16_hi v51, v[vgprLocalReadAddrA] offset:9440 // L -> Reg lro=9216 swapByteOffset=0 ti=32 vIdx=1 rIdx=2 oIdx=0 buffer=0 iui=0
_ds_load_u8_d16_hi v52, v[vgprLocalReadAddrA] offset:9536 // L -> Reg lro=9216 swapByteOffset=0 ti=32 vIdx=1 rIdx=3 oIdx=0 buffer=0 iui=0
v_mfma_i32_16x16x16i8 a[20+0:23+0], v[vgprValuA_X1_I0+2+0+0], v[vgprValuB_X1_I0+1+0+0], a[20:23]
/*  mfmaIndex:49  */
_ds_load_u8 v[vgprValuA_X0_I0+2], v[vgprLocalReadAddrA] offset:9280 // L -> Reg lro=9216 swapByteOffset=0 ti=32 vIdx=2 rIdx=0 oIdx=0 buffer=0 iui=0
_ds_load_u8 v53, v[vgprLocalReadAddrA] offset:9376 // L -> Reg lro=9216 swapByteOffset=0 ti=32 vIdx=2 rIdx=1 oIdx=0 buffer=0 iui=0
_ds_load_u8_d16_hi v54, v[vgprLocalReadAddrA] offset:9472 // L -> Reg lro=9216 swapByteOffset=0 ti=32 vIdx=2 rIdx=2 oIdx=0 buffer=0 iui=0
v_mfma_i32_16x16x16i8 a[16+0:19+0], v[vgprValuA_X1_I0+1+0+0], v[vgprValuB_X1_I0+1+0+0], a[16:19]
/*  mfmaIndex:50  */
_ds_load_u8_d16_hi v55, v[vgprLocalReadAddrA] offset:9568 // L -> Reg lro=9216 swapByteOffset=0 ti=32 vIdx=2 rIdx=3 oIdx=0 buffer=0 iui=0
_ds_load_u8 v[vgprValuB_X0_I0+1], v[vgprLocalReadAddrB] offset:9248 // L -> Reg lro=9216 swapByteOffset=0 ti=32 vIdx=1 rIdx=0 oIdx=0 buffer=0 iui=0
_ds_load_u8 v59, v[vgprLocalReadAddrB] offset:9344 // L -> Reg lro=9216 swapByteOffset=0 ti=32 vIdx=1 rIdx=1 oIdx=0 buffer=0 iui=0
v_mfma_i32_16x16x16i8 a[12+0:15+0], v[vgprValuA_X1_I0+0+0+0], v[vgprValuB_X1_I0+1+0+0], a[12:15]
/*  mfmaIndex:51  */
_ds_load_u8_d16_hi v60, v[vgprLocalReadAddrB] offset:9440 // L -> Reg lro=9216 swapByteOffset=0 ti=32 vIdx=1 rIdx=2 oIdx=0 buffer=0 iui=0
_ds_load_u8_d16_hi v61, v[vgprLocalReadAddrB] offset:9536 // L -> Reg lro=9216 swapByteOffset=0 ti=32 vIdx=1 rIdx=3 oIdx=0 buffer=0 iui=0
v_mfma_i32_16x16x16i8 a[24+0:27+0], v[vgprValuA_X1_I0+0+0+0], v[vgprValuB_X1_I0+2+0+0], a[24:27]
/*  mfmaIndex:52  */
_ds_load_u8 v[vgprValuB_X0_I0+2], v[vgprLocalReadAddrB] offset:9280 // L -> Reg lro=9216 swapByteOffset=0 ti=32 vIdx=2 rIdx=0 oIdx=0 buffer=0 iui=0
_ds_load_u8 v62, v[vgprLocalReadAddrB] offset:9376 // L -> Reg lro=9216 swapByteOffset=0 ti=32 vIdx=2 rIdx=1 oIdx=0 buffer=0 iui=0
v_mfma_i32_16x16x16i8 a[28+0:31+0], v[vgprValuA_X1_I0+1+0+0], v[vgprValuB_X1_I0+2+0+0], a[28:31]
/*  mfmaIndex:53  */
_ds_load_u8_d16_hi v63, v[vgprLocalReadAddrB] offset:9472 // L -> Reg lro=9216 swapByteOffset=0 ti=32 vIdx=2 rIdx=2 oIdx=0 buffer=0 iui=0
_ds_load_u8_d16_hi v64, v[vgprLocalReadAddrB] offset:9568 // L -> Reg lro=9216 swapByteOffset=0 ti=32 vIdx=2 rIdx=3 oIdx=0 buffer=0 iui=0
/* localReadsVacancy: latencyLeft 1 */
v_mfma_i32_16x16x16i8 a[32+0:35+0], v[vgprValuA_X1_I0+2+0+0], v[vgprValuB_X1_I0+2+0+0], a[32:35]
/* numPrefetchIter=0 */
/* dataAtIterA=4 numReadsIterA=6 skipReadsIterA=1 readsPerIterA=12 */
/* dataAtIterB=4 numReadsIterB=6 skipReadsIterB=1 readsPerIterB=12 */


/* iter 6 (reset local read pointers iteration)  (swap and reset local write pointers iteration)  (swap local read pointers iteration)  */

/*  grEndMfmaIndex:5, lwStartMfmaIndex:55, lwEndMfmaIndex:60  */
/*  numMfmaForLR:8, barrierMfmaIndex:63 */
/*  mfmaIndex:54  */
_ds_load_u8 v[vgprValuA_X1_I0+0], v[vgprLocalReadAddrA] offset:10752 // L -> Reg lro=10752 swapByteOffset=0 ti=32 vIdx=0 rIdx=0 oIdx=0 buffer=1 iui=0
_ds_load_u8 v65, v[vgprLocalReadAddrA] offset:10848 // L -> Reg lro=10752 swapByteOffset=0 ti=32 vIdx=0 rIdx=1 oIdx=0 buffer=1 iui=0
_ds_load_u8_d16_hi v66, v[vgprLocalReadAddrA] offset:10944 // L -> Reg lro=10752 swapByteOffset=0 ti=32 vIdx=0 rIdx=2 oIdx=0 buffer=1 iui=0
s_waitcnt lgkmcnt(3)                               // lgkmcnt=0 vmcnt=-1wait for prior local read local write old=0, new=3 newLW=0 newLR=3
/* pack scheduling: packAIdx:3, packBIdx:3 */
_v_lshl_or_b32 v[vgprValuA_X0_I0+0], v47, 0x8, v[vgprValuA_X0_I0+0] // pack two int8 Vgpr to one half Vgpr
_v_lshl_or_b32 v48, v49, 0x8, v48                  // pack two int8 Vgpr to one half Vgpr
v_or_b32 v[vgprValuA_X0_I0+0], v[vgprValuA_X0_I0+0], v48 // pack two half Vgpr to one Vgpr
_v_lshl_or_b32 v[vgprValuB_X0_I0+0], v56, 0x8, v[vgprValuB_X0_I0+0] // pack two int8 Vgpr to one half Vgpr
_v_lshl_or_b32 v57, v58, 0x8, v57                  // pack two int8 Vgpr to one half Vgpr
v_or_b32 v[vgprValuB_X0_I0+0], v[vgprValuB_X0_I0+0], v57 // pack two half Vgpr to one Vgpr
_v_lshl_or_b32 v[vgprValuA_X0_I0+1], v50, 0x8, v[vgprValuA_X0_I0+1] // pack two int8 Vgpr to one half Vgpr
_v_lshl_or_b32 v51, v52, 0x8, v51                  // pack two int8 Vgpr to one half Vgpr
v_or_b32 v[vgprValuA_X0_I0+1], v[vgprValuA_X0_I0+1], v51 // pack two half Vgpr to one Vgpr
v_mfma_i32_16x16x16i8 a[0+0:3+0], v[vgprValuA_X0_I0+0+0+0], v[vgprValuB_X0_I0+0+0+0], a[0:3]
/*  mfmaIndex:55  */
_ds_load_u8_d16_hi v67, v[vgprLocalReadAddrA] offset:11040 // L -> Reg lro=10752 swapByteOffset=0 ti=32 vIdx=0 rIdx=3 oIdx=0 buffer=1 iui=0
_ds_load_u8 v[vgprValuB_X1_I0+0], v[vgprLocalReadAddrB] offset:10752 // L -> Reg lro=10752 swapByteOffset=0 ti=32 vIdx=0 rIdx=0 oIdx=0 buffer=1 iui=0
_ds_load_u8 v74, v[vgprLocalReadAddrB] offset:10848 // L -> Reg lro=10752 swapByteOffset=0 ti=32 vIdx=0 rIdx=1 oIdx=0 buffer=1 iui=0
/* sched write - iter 6 writesPerItem=1 */
s_waitcnt vmcnt(0)                                 // lgkmcnt=-1 vmcnt=0wait for global read before writing to local
_ds_store_b128 v[vgprLocalWriteAddrA], v[vgprG2LA+0:vgprG2LA+0+3] offset:32768 // lwoA_0_0_0_0 = (0*LSCA) + (0*LSPA)(*MT0I+PAD) = 32768
/* pack scheduling: packAIdx:6, packBIdx:3 */
_v_lshl_or_b32 v[vgprValuA_X0_I0+2], v53, 0x8, v[vgprValuA_X0_I0+2] // pack two int8 Vgpr to one half Vgpr
_v_lshl_or_b32 v54, v55, 0x8, v54                  // pack two int8 Vgpr to one half Vgpr
v_or_b32 v[vgprValuA_X0_I0+2], v[vgprValuA_X0_I0+2], v54 // pack two half Vgpr to one Vgpr
_v_lshl_or_b32 v[vgprValuB_X0_I0+1], v59, 0x8, v[vgprValuB_X0_I0+1] // pack two int8 Vgpr to one half Vgpr
_v_lshl_or_b32 v60, v61, 0x8, v60                  // pack two int8 Vgpr to one half Vgpr
v_or_b32 v[vgprValuB_X0_I0+1], v[vgprValuB_X0_I0+1], v60 // pack two half Vgpr to one Vgpr
v_mfma_i32_16x16x16i8 a[4+0:7+0], v[vgprValuA_X0_I0+1+0+0], v[vgprValuB_X0_I0+0+0+0], a[4:7]
/*  mfmaIndex:56  */
_ds_load_u8_d16_hi v75, v[vgprLocalReadAddrB] offset:10944 // L -> Reg lro=10752 swapByteOffset=0 ti=32 vIdx=0 rIdx=2 oIdx=0 buffer=1 iui=0
_ds_load_u8_d16_hi v76, v[vgprLocalReadAddrB] offset:11040 // L -> Reg lro=10752 swapByteOffset=0 ti=32 vIdx=0 rIdx=3 oIdx=0 buffer=1 iui=0
_ds_load_u8 v[vgprValuA_X1_I0+1], v[vgprLocalReadAddrA] offset:10784 // L -> Reg lro=10752 swapByteOffset=0 ti=32 vIdx=1 rIdx=0 oIdx=0 buffer=1 iui=0
/* sched write - iter 6 writesPerItem=1 */
s_waitcnt vmcnt(0)                                 // lgkmcnt=-1 vmcnt=0wait for global read before writing to local
_ds_store_b128 v[vgprLocalWriteAddrA], v[vgprG2LA+4:vgprG2LA+4+3] offset:32800 // lwoA_1_0_0_0 = (1*LSCA) + (0*LSPA)(*MT0I+PAD) = 32800
/* pack scheduling: packAIdx:9, packBIdx:3 */
_v_lshl_or_b32 v[vgprValuB_X0_I0+2], v62, 0x8, v[vgprValuB_X0_I0+2] // pack two int8 Vgpr to one half Vgpr
_v_lshl_or_b32 v63, v64, 0x8, v63                  // pack two int8 Vgpr to one half Vgpr
v_or_b32 v[vgprValuB_X0_I0+2], v[vgprValuB_X0_I0+2], v63 // pack two half Vgpr to one Vgpr
v_mfma_i32_16x16x16i8 a[8+0:11+0], v[vgprValuA_X0_I0+2+0+0], v[vgprValuB_X0_I0+0+0+0], a[8:11]
/*  mfmaIndex:57  */
_ds_load_u8 v68, v[vgprLocalReadAddrA] offset:10880 // L -> Reg lro=10752 swapByteOffset=0 ti=32 vIdx=1 rIdx=1 oIdx=0 buffer=1 iui=0
_ds_load_u8_d16_hi v69, v[vgprLocalReadAddrA] offset:10976 // L -> Reg lro=10752 swapByteOffset=0 ti=32 vIdx=1 rIdx=2 oIdx=0 buffer=1 iui=0
_ds_load_u8_d16_hi v70, v[vgprLocalReadAddrA] offset:11072 // L -> Reg lro=10752 swapByteOffset=0 ti=32 vIdx=1 rIdx=3 oIdx=0 buffer=1 iui=0
/* sched write - iter 6 writesPerItem=1 */
s_waitcnt vmcnt(0)                                 // lgkmcnt=-1 vmcnt=0wait for global read before writing to local
_ds_store_b128 v[vgprLocalWriteAddrA], v[vgprG2LA+8:vgprG2LA+8+3] offset:32832 // lwoA_2_0_0_0 = (2*LSCA) + (0*LSPA)(*MT0I+PAD) = 32832
v_mfma_i32_16x16x16i8 a[20+0:23+0], v[vgprValuA_X0_I0+2+0+0], v[vgprValuB_X0_I0+1+0+0], a[20:23]
/*  mfmaIndex:58  */
_ds_load_u8 v[vgprValuA_X1_I0+2], v[vgprLocalReadAddrA] offset:10816 // L -> Reg lro=10752 swapByteOffset=0 ti=32 vIdx=2 rIdx=0 oIdx=0 buffer=1 iui=0
_ds_load_u8 v71, v[vgprLocalReadAddrA] offset:10912 // L -> Reg lro=10752 swapByteOffset=0 ti=32 vIdx=2 rIdx=1 oIdx=0 buffer=1 iui=0
_ds_load_u8_d16_hi v72, v[vgprLocalReadAddrA] offset:11008 // L -> Reg lro=10752 swapByteOffset=0 ti=32 vIdx=2 rIdx=2 oIdx=0 buffer=1 iui=0
/* sched write - iter 6 writesPerItem=1 */
s_waitcnt vmcnt(0)                                 // lgkmcnt=-1 vmcnt=0wait for global read before writing to local
_ds_store_b128 v[vgprLocalWriteAddrB], v[vgprG2LB+0:vgprG2LB+0+3] offset:32768 // lwoB_0_0_0_0 = (0*LSCB) + (0*LSPB)(*MT1J+PAD) = 32768
v_mfma_i32_16x16x16i8 a[16+0:19+0], v[vgprValuA_X0_I0+1+0+0], v[vgprValuB_X0_I0+1+0+0], a[16:19]
/*  mfmaIndex:59  */
_ds_load_u8_d16_hi v73, v[vgprLocalReadAddrA] offset:11104 // L -> Reg lro=10752 swapByteOffset=0 ti=32 vIdx=2 rIdx=3 oIdx=0 buffer=1 iui=0
_ds_load_u8 v[vgprValuB_X1_I0+1], v[vgprLocalReadAddrB] offset:10784 // L -> Reg lro=10752 swapByteOffset=0 ti=32 vIdx=1 rIdx=0 oIdx=0 buffer=1 iui=0
_ds_load_u8 v77, v[vgprLocalReadAddrB] offset:10880 // L -> Reg lro=10752 swapByteOffset=0 ti=32 vIdx=1 rIdx=1 oIdx=0 buffer=1 iui=0
/* sched write - iter 6 writesPerItem=1 */
s_waitcnt vmcnt(0)                                 // lgkmcnt=-1 vmcnt=0wait for global read before writing to local
_ds_store_b128 v[vgprLocalWriteAddrB], v[vgprG2LB+4:vgprG2LB+4+3] offset:32800 // lwoB_1_0_0_0 = (1*LSCB) + (0*LSPB)(*MT1J+PAD) = 32800
v_mfma_i32_16x16x16i8 a[12+0:15+0], v[vgprValuA_X0_I0+0+0+0], v[vgprValuB_X0_I0+1+0+0], a[12:15]
/*  mfmaIndex:60  */
_ds_load_u8_d16_hi v78, v[vgprLocalReadAddrB] offset:10976 // L -> Reg lro=10752 swapByteOffset=0 ti=32 vIdx=1 rIdx=2 oIdx=0 buffer=1 iui=0
_ds_load_u8_d16_hi v79, v[vgprLocalReadAddrB] offset:11072 // L -> Reg lro=10752 swapByteOffset=0 ti=32 vIdx=1 rIdx=3 oIdx=0 buffer=1 iui=0
/* sched write - iter 6 writesPerItem=1 */
s_waitcnt vmcnt(0)                                 // lgkmcnt=-1 vmcnt=0wait for global read before writing to local
_ds_store_b128 v[vgprLocalWriteAddrB], v[vgprG2LB+8:vgprG2LB+8+3] offset:32832 // lwoB_2_0_0_0 = (2*LSCB) + (0*LSPB)(*MT1J+PAD) = 32832

/* local write swap offsets a */

/* (EPS=1) local write swap internal offset -> 0 */

/* local write swap offsets b */

/* (EPS=1) local write swap internal offset -> 0 */
v_mfma_i32_16x16x16i8 a[24+0:27+0], v[vgprValuA_X0_I0+0+0+0], v[vgprValuB_X0_I0+2+0+0], a[24:27]
/*  mfmaIndex:61  */
_ds_load_u8 v[vgprValuB_X1_I0+2], v[vgprLocalReadAddrB] offset:10816 // L -> Reg lro=10752 swapByteOffset=0 ti=32 vIdx=2 rIdx=0 oIdx=0 buffer=1 iui=0
_ds_load_u8 v80, v[vgprLocalReadAddrB] offset:10912 // L -> Reg lro=10752 swapByteOffset=0 ti=32 vIdx=2 rIdx=1 oIdx=0 buffer=1 iui=0
v_mfma_i32_16x16x16i8 a[28+0:31+0], v[vgprValuA_X0_I0+1+0+0], v[vgprValuB_X0_I0+2+0+0], a[28:31]
/*  mfmaIndex:62  */
_ds_load_u8_d16_hi v81, v[vgprLocalReadAddrB] offset:11008 // L -> Reg lro=10752 swapByteOffset=0 ti=32 vIdx=2 rIdx=2 oIdx=0 buffer=1 iui=0
_ds_load_u8_d16_hi v82, v[vgprLocalReadAddrB] offset:11104 // L -> Reg lro=10752 swapByteOffset=0 ti=32 vIdx=2 rIdx=3 oIdx=0 buffer=1 iui=0
/* localReadsVacancy: latencyLeft 1 */

/* local read swap offsets a */

/* local read swap internal offset -> 32768 */

/* local read swap offsets b */

/* local read swap internal offset -> 32768 */

/* local read init pointers a */

/* localReadInitPointers */

/* local read init pointers b */

/* localReadInitPointers */
v_mfma_i32_16x16x16i8 a[32+0:35+0], v[vgprValuA_X0_I0+2+0+0], v[vgprValuB_X0_I0+2+0+0], a[32:35]
/* numPrefetchIter=0 */
/* dataAtIterA=5 numReadsIterA=7 skipReadsIterA=1 readsPerIterA=12 */
/* dataAtIterB=5 numReadsIterB=7 skipReadsIterB=1 readsPerIterB=12 */


/* iter 7 */

/*  grEndMfmaIndex:5, lwStartMfmaIndex:55, lwEndMfmaIndex:60  */
/*  numMfmaForLR:8, barrierMfmaIndex:63 */
/*  mfmaIndex:63  */
s_waitcnt lgkmcnt(0)                               // lgkmcnt=0 vmcnt=-13wait for local write
s_waitcnt lgkmcnt(0) & vmcnt(0)                    // force waitcnt0
s_barrier //
s_waitcnt lgkmcnt(0)                               // lgkmcnt=0 vmcnt=-1wait for prior local read local write old=0, new=0 newLW=0 newLR=0
/* pack scheduling: packAIdx:3, packBIdx:3 */
_v_lshl_or_b32 v[vgprValuA_X1_I0+0], v65, 0x8, v[vgprValuA_X1_I0+0] // pack two int8 Vgpr to one half Vgpr
_v_lshl_or_b32 v66, v67, 0x8, v66                  // pack two int8 Vgpr to one half Vgpr
v_or_b32 v[vgprValuA_X1_I0+0], v[vgprValuA_X1_I0+0], v66 // pack two half Vgpr to one Vgpr
_v_lshl_or_b32 v[vgprValuB_X1_I0+0], v74, 0x8, v[vgprValuB_X1_I0+0] // pack two int8 Vgpr to one half Vgpr
_v_lshl_or_b32 v75, v76, 0x8, v75                  // pack two int8 Vgpr to one half Vgpr
v_or_b32 v[vgprValuB_X1_I0+0], v[vgprValuB_X1_I0+0], v75 // pack two half Vgpr to one Vgpr
_v_lshl_or_b32 v[vgprValuA_X1_I0+1], v68, 0x8, v[vgprValuA_X1_I0+1] // pack two int8 Vgpr to one half Vgpr
_v_lshl_or_b32 v69, v70, 0x8, v69                  // pack two int8 Vgpr to one half Vgpr
v_or_b32 v[vgprValuA_X1_I0+1], v[vgprValuA_X1_I0+1], v69 // pack two half Vgpr to one Vgpr
v_mfma_i32_16x16x16i8 a[0+0:3+0], v[vgprValuA_X1_I0+0+0+0], v[vgprValuB_X1_I0+0+0+0], a[0:3]
/*  mfmaIndex:64  */
_ds_load_u8 v[vgprValuA_X0_I0+0], v[vgprLocalReadAddrA] offset:32768 // L -> Reg lro=0 swapByteOffset=32768 ti=32 vIdx=0 rIdx=0 oIdx=0 buffer=0 iui=0
_ds_load_u8 v47, v[vgprLocalReadAddrA] offset:32864 // L -> Reg lro=0 swapByteOffset=32768 ti=32 vIdx=0 rIdx=1 oIdx=0 buffer=0 iui=0
_ds_load_u8_d16_hi v48, v[vgprLocalReadAddrA] offset:32960 // L -> Reg lro=0 swapByteOffset=32768 ti=32 vIdx=0 rIdx=2 oIdx=0 buffer=0 iui=0
/* pack scheduling: packAIdx:6, packBIdx:3 */
_v_lshl_or_b32 v[vgprValuA_X1_I0+2], v71, 0x8, v[vgprValuA_X1_I0+2] // pack two int8 Vgpr to one half Vgpr
_v_lshl_or_b32 v72, v73, 0x8, v72                  // pack two int8 Vgpr to one half Vgpr
v_or_b32 v[vgprValuA_X1_I0+2], v[vgprValuA_X1_I0+2], v72 // pack two half Vgpr to one Vgpr
_v_lshl_or_b32 v[vgprValuB_X1_I0+1], v77, 0x8, v[vgprValuB_X1_I0+1] // pack two int8 Vgpr to one half Vgpr
_v_lshl_or_b32 v78, v79, 0x8, v78                  // pack two int8 Vgpr to one half Vgpr
v_or_b32 v[vgprValuB_X1_I0+1], v[vgprValuB_X1_I0+1], v78 // pack two half Vgpr to one Vgpr
v_mfma_i32_16x16x16i8 a[4+0:7+0], v[vgprValuA_X1_I0+1+0+0], v[vgprValuB_X1_I0+0+0+0], a[4:7]
/*  mfmaIndex:65  */
_ds_load_u8_d16_hi v49, v[vgprLocalReadAddrA] offset:33056 // L -> Reg lro=0 swapByteOffset=32768 ti=32 vIdx=0 rIdx=3 oIdx=0 buffer=0 iui=0
_ds_load_u8 v[vgprValuB_X0_I0+0], v[vgprLocalReadAddrB] offset:32768 // L -> Reg lro=0 swapByteOffset=32768 ti=32 vIdx=0 rIdx=0 oIdx=0 buffer=0 iui=0
_ds_load_u8 v56, v[vgprLocalReadAddrB] offset:32864 // L -> Reg lro=0 swapByteOffset=32768 ti=32 vIdx=0 rIdx=1 oIdx=0 buffer=0 iui=0
/* pack scheduling: packAIdx:9, packBIdx:3 */
_v_lshl_or_b32 v[vgprValuB_X1_I0+2], v80, 0x8, v[vgprValuB_X1_I0+2] // pack two int8 Vgpr to one half Vgpr
_v_lshl_or_b32 v81, v82, 0x8, v81                  // pack two int8 Vgpr to one half Vgpr
v_or_b32 v[vgprValuB_X1_I0+2], v[vgprValuB_X1_I0+2], v81 // pack two half Vgpr to one Vgpr
v_mfma_i32_16x16x16i8 a[8+0:11+0], v[vgprValuA_X1_I0+2+0+0], v[vgprValuB_X1_I0+0+0+0], a[8:11]
/*  mfmaIndex:66  */
_ds_load_u8_d16_hi v57, v[vgprLocalReadAddrB] offset:32960 // L -> Reg lro=0 swapByteOffset=32768 ti=32 vIdx=0 rIdx=2 oIdx=0 buffer=0 iui=0
_ds_load_u8_d16_hi v58, v[vgprLocalReadAddrB] offset:33056 // L -> Reg lro=0 swapByteOffset=32768 ti=32 vIdx=0 rIdx=3 oIdx=0 buffer=0 iui=0
_ds_load_u8 v[vgprValuA_X0_I0+1], v[vgprLocalReadAddrA] offset:32800 // L -> Reg lro=0 swapByteOffset=32768 ti=32 vIdx=1 rIdx=0 oIdx=0 buffer=0 iui=0
v_mfma_i32_16x16x16i8 a[20+0:23+0], v[vgprValuA_X1_I0+2+0+0], v[vgprValuB_X1_I0+1+0+0], a[20:23]
/*  mfmaIndex:67  */
_ds_load_u8 v50, v[vgprLocalReadAddrA] offset:32896 // L -> Reg lro=0 swapByteOffset=32768 ti=32 vIdx=1 rIdx=1 oIdx=0 buffer=0 iui=0
_ds_load_u8_d16_hi v51, v[vgprLocalReadAddrA] offset:32992 // L -> Reg lro=0 swapByteOffset=32768 ti=32 vIdx=1 rIdx=2 oIdx=0 buffer=0 iui=0
_ds_load_u8_d16_hi v52, v[vgprLocalReadAddrA] offset:33088 // L -> Reg lro=0 swapByteOffset=32768 ti=32 vIdx=1 rIdx=3 oIdx=0 buffer=0 iui=0
v_mfma_i32_16x16x16i8 a[16+0:19+0], v[vgprValuA_X1_I0+1+0+0], v[vgprValuB_X1_I0+1+0+0], a[16:19]
/*  mfmaIndex:68  */
_ds_load_u8 v[vgprValuA_X0_I0+2], v[vgprLocalReadAddrA] offset:32832 // L -> Reg lro=0 swapByteOffset=32768 ti=32 vIdx=2 rIdx=0 oIdx=0 buffer=0 iui=0
_ds_load_u8 v53, v[vgprLocalReadAddrA] offset:32928 // L -> Reg lro=0 swapByteOffset=32768 ti=32 vIdx=2 rIdx=1 oIdx=0 buffer=0 iui=0
_ds_load_u8_d16_hi v54, v[vgprLocalReadAddrA] offset:33024 // L -> Reg lro=0 swapByteOffset=32768 ti=32 vIdx=2 rIdx=2 oIdx=0 buffer=0 iui=0
v_mfma_i32_16x16x16i8 a[12+0:15+0], v[vgprValuA_X1_I0+0+0+0], v[vgprValuB_X1_I0+1+0+0], a[12:15]
/*  mfmaIndex:69  */
_ds_load_u8_d16_hi v55, v[vgprLocalReadAddrA] offset:33120 // L -> Reg lro=0 swapByteOffset=32768 ti=32 vIdx=2 rIdx=3 oIdx=0 buffer=0 iui=0
_ds_load_u8 v[vgprValuB_X0_I0+1], v[vgprLocalReadAddrB] offset:32800 // L -> Reg lro=0 swapByteOffset=32768 ti=32 vIdx=1 rIdx=0 oIdx=0 buffer=0 iui=0
_ds_load_u8 v59, v[vgprLocalReadAddrB] offset:32896 // L -> Reg lro=0 swapByteOffset=32768 ti=32 vIdx=1 rIdx=1 oIdx=0 buffer=0 iui=0
v_mfma_i32_16x16x16i8 a[24+0:27+0], v[vgprValuA_X1_I0+0+0+0], v[vgprValuB_X1_I0+2+0+0], a[24:27]
/*  mfmaIndex:70  */
_ds_load_u8_d16_hi v60, v[vgprLocalReadAddrB] offset:32992 // L -> Reg lro=0 swapByteOffset=32768 ti=32 vIdx=1 rIdx=2 oIdx=0 buffer=0 iui=0
_ds_load_u8_d16_hi v61, v[vgprLocalReadAddrB] offset:33088 // L -> Reg lro=0 swapByteOffset=32768 ti=32 vIdx=1 rIdx=3 oIdx=0 buffer=0 iui=0
_ds_load_u8 v[vgprValuB_X0_I0+2], v[vgprLocalReadAddrB] offset:32832 // L -> Reg lro=0 swapByteOffset=32768 ti=32 vIdx=2 rIdx=0 oIdx=0 buffer=0 iui=0
v_mfma_i32_16x16x16i8 a[28+0:31+0], v[vgprValuA_X1_I0+1+0+0], v[vgprValuB_X1_I0+2+0+0], a[28:31]
/*  mfmaIndex:71  */
_ds_load_u8 v62, v[vgprLocalReadAddrB] offset:32928 // L -> Reg lro=0 swapByteOffset=32768 ti=32 vIdx=2 rIdx=1 oIdx=0 buffer=0 iui=0
_ds_load_u8_d16_hi v63, v[vgprLocalReadAddrB] offset:33024 // L -> Reg lro=0 swapByteOffset=32768 ti=32 vIdx=2 rIdx=2 oIdx=0 buffer=0 iui=0
_ds_load_u8_d16_hi v64, v[vgprLocalReadAddrB] offset:33120 // L -> Reg lro=0 swapByteOffset=32768 ti=32 vIdx=2 rIdx=3 oIdx=0 buffer=0 iui=0
v_mfma_i32_16x16x16i8 a[32+0:35+0], v[vgprValuA_X1_I0+2+0+0], v[vgprValuB_X1_I0+2+0+0], a[32:35]
/* numPrefetchIter=1 */
/* dataAtIterA=6 numReadsIterA=7 skipReadsIterA=1 readsPerIterA=12 */
/* dataAtIterB=6 numReadsIterB=7 skipReadsIterB=1 readsPerIterB=12 */


/******************************************/
/* Unrolled Loop - End 1/2                */
/******************************************/


/* closeLoop loopL finalLoop=0 tailLoop=0 */
s_sub_u32 s[sgprLoopCounterL], s[sgprLoopCounterL], 1 // dec counterL
s_cmp_eq_i32 s[sgprLoopCounterL], 0x1              // counterL==1
s_cbranch_scc1 LoopEndL_oddexit_3                  // exit LoopL


/******************************************/
/* Unrolled Loop 2/2 - Begin              */
/******************************************/

label_0014: // LoopCopy2 


/* Begin Each Unroll: Check VGPR.checkin for INT8 LW */


	;; [unrolled: 1-line block ×3, first 2 shown]
/* iter 0 */

/*  grEndMfmaIndex:5, lwStartMfmaIndex:55, lwEndMfmaIndex:60  */
/*  numMfmaForLR:8, barrierMfmaIndex:63 */
/*  mfmaIndex:0  */
_buffer_load_b128 v[vgprG2LA+0:vgprG2LA+0+3], v[vgprGlobalReadOffsetA+0], s[sgprSrdA:sgprSrdA+3], 0, offen offset:0 // G -> Reg 0_0_0_0
s_waitcnt lgkmcnt(0)                               // lgkmcnt=0 vmcnt=-1wait for prior local read local write old=0, new=0 newLW=0 newLR=0
/* pack scheduling: packAIdx:3, packBIdx:3 */
_v_lshl_or_b32 v[vgprValuA_X0_I0+0], v47, 0x8, v[vgprValuA_X0_I0+0] // pack two int8 Vgpr to one half Vgpr
_v_lshl_or_b32 v48, v49, 0x8, v48                  // pack two int8 Vgpr to one half Vgpr
v_or_b32 v[vgprValuA_X0_I0+0], v[vgprValuA_X0_I0+0], v48 // pack two half Vgpr to one Vgpr
_v_lshl_or_b32 v[vgprValuB_X0_I0+0], v56, 0x8, v[vgprValuB_X0_I0+0] // pack two int8 Vgpr to one half Vgpr
_v_lshl_or_b32 v57, v58, 0x8, v57                  // pack two int8 Vgpr to one half Vgpr
v_or_b32 v[vgprValuB_X0_I0+0], v[vgprValuB_X0_I0+0], v57 // pack two half Vgpr to one Vgpr
_v_lshl_or_b32 v[vgprValuA_X0_I0+1], v50, 0x8, v[vgprValuA_X0_I0+1] // pack two int8 Vgpr to one half Vgpr
_v_lshl_or_b32 v51, v52, 0x8, v51                  // pack two int8 Vgpr to one half Vgpr
v_or_b32 v[vgprValuA_X0_I0+1], v[vgprValuA_X0_I0+1], v51 // pack two half Vgpr to one Vgpr
v_mfma_i32_16x16x16i8 a[0+0:3+0], v[vgprValuA_X0_I0+0+0+0], v[vgprValuB_X0_I0+0+0+0], a[0:3]
/*  mfmaIndex:1  */
_ds_load_u8 v[vgprValuA_X1_I0+0], v[vgprLocalReadAddrA] offset:34304 // L -> Reg lro=1536 swapByteOffset=32768 ti=32 vIdx=0 rIdx=0 oIdx=0 buffer=1 iui=0
_ds_load_u8 v65, v[vgprLocalReadAddrA] offset:34400 // L -> Reg lro=1536 swapByteOffset=32768 ti=32 vIdx=0 rIdx=1 oIdx=0 buffer=1 iui=0
_ds_load_u8_d16_hi v66, v[vgprLocalReadAddrA] offset:34496 // L -> Reg lro=1536 swapByteOffset=32768 ti=32 vIdx=0 rIdx=2 oIdx=0 buffer=1 iui=0
_buffer_load_b128 v[vgprG2LA+4:vgprG2LA+4+3], v[vgprGlobalReadOffsetA+1], s[sgprSrdA:sgprSrdA+3], 0, offen offset:0 // G -> Reg 1_0_0_0
/* pack scheduling: packAIdx:6, packBIdx:3 */
_v_lshl_or_b32 v[vgprValuA_X0_I0+2], v53, 0x8, v[vgprValuA_X0_I0+2] // pack two int8 Vgpr to one half Vgpr
_v_lshl_or_b32 v54, v55, 0x8, v54                  // pack two int8 Vgpr to one half Vgpr
v_or_b32 v[vgprValuA_X0_I0+2], v[vgprValuA_X0_I0+2], v54 // pack two half Vgpr to one Vgpr
_v_lshl_or_b32 v[vgprValuB_X0_I0+1], v59, 0x8, v[vgprValuB_X0_I0+1] // pack two int8 Vgpr to one half Vgpr
_v_lshl_or_b32 v60, v61, 0x8, v60                  // pack two int8 Vgpr to one half Vgpr
v_or_b32 v[vgprValuB_X0_I0+1], v[vgprValuB_X0_I0+1], v60 // pack two half Vgpr to one Vgpr
v_mfma_i32_16x16x16i8 a[4+0:7+0], v[vgprValuA_X0_I0+1+0+0], v[vgprValuB_X0_I0+0+0+0], a[4:7]
/*  mfmaIndex:2  */
_ds_load_u8_d16_hi v67, v[vgprLocalReadAddrA] offset:34592 // L -> Reg lro=1536 swapByteOffset=32768 ti=32 vIdx=0 rIdx=3 oIdx=0 buffer=1 iui=0
_ds_load_u8 v[vgprValuB_X1_I0+0], v[vgprLocalReadAddrB] offset:34304 // L -> Reg lro=1536 swapByteOffset=32768 ti=32 vIdx=0 rIdx=0 oIdx=0 buffer=1 iui=0
_ds_load_u8 v74, v[vgprLocalReadAddrB] offset:34400 // L -> Reg lro=1536 swapByteOffset=32768 ti=32 vIdx=0 rIdx=1 oIdx=0 buffer=1 iui=0
_buffer_load_b128 v[vgprG2LA+8:vgprG2LA+8+3], v[vgprGlobalReadOffsetA+2], s[sgprSrdA:sgprSrdA+3], 0, offen offset:0 // G -> Reg 2_0_0_0
/* pack scheduling: packAIdx:9, packBIdx:3 */
_v_lshl_or_b32 v[vgprValuB_X0_I0+2], v62, 0x8, v[vgprValuB_X0_I0+2] // pack two int8 Vgpr to one half Vgpr
_v_lshl_or_b32 v63, v64, 0x8, v63                  // pack two int8 Vgpr to one half Vgpr
v_or_b32 v[vgprValuB_X0_I0+2], v[vgprValuB_X0_I0+2], v63 // pack two half Vgpr to one Vgpr
v_mfma_i32_16x16x16i8 a[8+0:11+0], v[vgprValuA_X0_I0+2+0+0], v[vgprValuB_X0_I0+0+0+0], a[8:11]
/*  mfmaIndex:3  */
_ds_load_u8_d16_hi v75, v[vgprLocalReadAddrB] offset:34496 // L -> Reg lro=1536 swapByteOffset=32768 ti=32 vIdx=0 rIdx=2 oIdx=0 buffer=1 iui=0
_ds_load_u8_d16_hi v76, v[vgprLocalReadAddrB] offset:34592 // L -> Reg lro=1536 swapByteOffset=32768 ti=32 vIdx=0 rIdx=3 oIdx=0 buffer=1 iui=0
_ds_load_u8 v[vgprValuA_X1_I0+1], v[vgprLocalReadAddrA] offset:34336 // L -> Reg lro=1536 swapByteOffset=32768 ti=32 vIdx=1 rIdx=0 oIdx=0 buffer=1 iui=0
_buffer_load_b128 v[vgprG2LB+0:vgprG2LB+0+3], v[vgprGlobalReadOffsetB+0], s[sgprSrdB:sgprSrdB+3], 0, offen offset:0 // G -> Reg 0_0_0_0
v_mfma_i32_16x16x16i8 a[20+0:23+0], v[vgprValuA_X0_I0+2+0+0], v[vgprValuB_X0_I0+1+0+0], a[20:23]
/*  mfmaIndex:4  */
_ds_load_u8 v68, v[vgprLocalReadAddrA] offset:34432 // L -> Reg lro=1536 swapByteOffset=32768 ti=32 vIdx=1 rIdx=1 oIdx=0 buffer=1 iui=0
_ds_load_u8_d16_hi v69, v[vgprLocalReadAddrA] offset:34528 // L -> Reg lro=1536 swapByteOffset=32768 ti=32 vIdx=1 rIdx=2 oIdx=0 buffer=1 iui=0
_ds_load_u8_d16_hi v70, v[vgprLocalReadAddrA] offset:34624 // L -> Reg lro=1536 swapByteOffset=32768 ti=32 vIdx=1 rIdx=3 oIdx=0 buffer=1 iui=0
_buffer_load_b128 v[vgprG2LB+4:vgprG2LB+4+3], v[vgprGlobalReadOffsetB+1], s[sgprSrdB:sgprSrdB+3], 0, offen offset:0 // G -> Reg 1_0_0_0
v_mfma_i32_16x16x16i8 a[16+0:19+0], v[vgprValuA_X0_I0+1+0+0], v[vgprValuB_X0_I0+1+0+0], a[16:19]
/*  mfmaIndex:5  */
_ds_load_u8 v[vgprValuA_X1_I0+2], v[vgprLocalReadAddrA] offset:34368 // L -> Reg lro=1536 swapByteOffset=32768 ti=32 vIdx=2 rIdx=0 oIdx=0 buffer=1 iui=0
_ds_load_u8 v71, v[vgprLocalReadAddrA] offset:34464 // L -> Reg lro=1536 swapByteOffset=32768 ti=32 vIdx=2 rIdx=1 oIdx=0 buffer=1 iui=0
_ds_load_u8_d16_hi v72, v[vgprLocalReadAddrA] offset:34560 // L -> Reg lro=1536 swapByteOffset=32768 ti=32 vIdx=2 rIdx=2 oIdx=0 buffer=1 iui=0
_buffer_load_b128 v[vgprG2LB+8:vgprG2LB+8+3], v[vgprGlobalReadOffsetB+2], s[sgprSrdB:sgprSrdB+3], 0, offen offset:0 // G -> Reg 2_0_0_0
v_mfma_i32_16x16x16i8 a[12+0:15+0], v[vgprValuA_X0_I0+0+0+0], v[vgprValuB_X0_I0+1+0+0], a[12:15]
/*  mfmaIndex:6  */
_ds_load_u8_d16_hi v73, v[vgprLocalReadAddrA] offset:34656 // L -> Reg lro=1536 swapByteOffset=32768 ti=32 vIdx=2 rIdx=3 oIdx=0 buffer=1 iui=0
_ds_load_u8 v[vgprValuB_X1_I0+1], v[vgprLocalReadAddrB] offset:34336 // L -> Reg lro=1536 swapByteOffset=32768 ti=32 vIdx=1 rIdx=0 oIdx=0 buffer=1 iui=0
_ds_load_u8 v77, v[vgprLocalReadAddrB] offset:34432 // L -> Reg lro=1536 swapByteOffset=32768 ti=32 vIdx=1 rIdx=1 oIdx=0 buffer=1 iui=0

/* global read inc A loopL */
s_add_u32 s[sgprSrdA+0], s[sgprSrdA+0], s[sgprGlobalReadIncsA+0] // gra SRD += inc(lower)
s_addc_u32  s[sgprSrdA+1], s[sgprSrdA+1], 0        // gra SRD += inc(upper)
s_sub_u32 s[sgprShadowLimitA+0], s[sgprShadowLimitA+0], s[sgprGlobalReadIncsA+0] // limit -= inc)
v_mfma_i32_16x16x16i8 a[24+0:27+0], v[vgprValuA_X0_I0+0+0+0], v[vgprValuB_X0_I0+2+0+0], a[24:27]
/*  mfmaIndex:7  */
_ds_load_u8_d16_hi v78, v[vgprLocalReadAddrB] offset:34528 // L -> Reg lro=1536 swapByteOffset=32768 ti=32 vIdx=1 rIdx=2 oIdx=0 buffer=1 iui=0
_ds_load_u8_d16_hi v79, v[vgprLocalReadAddrB] offset:34624 // L -> Reg lro=1536 swapByteOffset=32768 ti=32 vIdx=1 rIdx=3 oIdx=0 buffer=1 iui=0
_ds_load_u8 v[vgprValuB_X1_I0+2], v[vgprLocalReadAddrB] offset:34368 // L -> Reg lro=1536 swapByteOffset=32768 ti=32 vIdx=2 rIdx=0 oIdx=0 buffer=1 iui=0
s_subb_u32 s[sgprShadowLimitA+1], s[sgprShadowLimitA+1], 0 // limit -= inc)
s_cmp_eq_u32 s[sgprShadowLimitA+1], 0              // are we within 2^32?
s_cmov_b32 s[sgprSrdA+2], s[sgprShadowLimitA+0]    // Move shadow to real if we are within 2^32
v_mfma_i32_16x16x16i8 a[28+0:31+0], v[vgprValuA_X0_I0+1+0+0], v[vgprValuB_X0_I0+2+0+0], a[28:31]
/*  mfmaIndex:8  */
_ds_load_u8 v80, v[vgprLocalReadAddrB] offset:34464 // L -> Reg lro=1536 swapByteOffset=32768 ti=32 vIdx=2 rIdx=1 oIdx=0 buffer=1 iui=0
_ds_load_u8_d16_hi v81, v[vgprLocalReadAddrB] offset:34560 // L -> Reg lro=1536 swapByteOffset=32768 ti=32 vIdx=2 rIdx=2 oIdx=0 buffer=1 iui=0
_ds_load_u8_d16_hi v82, v[vgprLocalReadAddrB] offset:34656 // L -> Reg lro=1536 swapByteOffset=32768 ti=32 vIdx=2 rIdx=3 oIdx=0 buffer=1 iui=0

/* global read inc B loopL */
s_add_u32 s[sgprSrdB+0], s[sgprSrdB+0], s[sgprGlobalReadIncsB+0] // gra SRD += inc(lower)
s_addc_u32  s[sgprSrdB+1], s[sgprSrdB+1], 0        // gra SRD += inc(upper)
s_sub_u32 s[sgprShadowLimitB+0], s[sgprShadowLimitB+0], s[sgprGlobalReadIncsB+0] // limit -= inc)
v_mfma_i32_16x16x16i8 a[32+0:35+0], v[vgprValuA_X0_I0+2+0+0], v[vgprValuB_X0_I0+2+0+0], a[32:35]
/* numPrefetchIter=0 */
/* dataAtIterA=-1 numReadsIterA=1 skipReadsIterA=1 readsPerIterA=12 */
/* dataAtIterB=-1 numReadsIterB=1 skipReadsIterB=1 readsPerIterB=12 */


/* iter 1 */

/*  grEndMfmaIndex:5, lwStartMfmaIndex:55, lwEndMfmaIndex:60  */
/*  numMfmaForLR:8, barrierMfmaIndex:63 */
/*  mfmaIndex:9  */
_ds_load_u8 v[vgprValuA_X0_I0+0], v[vgprLocalReadAddrA] offset:35840 // L -> Reg lro=3072 swapByteOffset=32768 ti=32 vIdx=0 rIdx=0 oIdx=0 buffer=0 iui=0
_ds_load_u8 v47, v[vgprLocalReadAddrA] offset:35936 // L -> Reg lro=3072 swapByteOffset=32768 ti=32 vIdx=0 rIdx=1 oIdx=0 buffer=0 iui=0
_ds_load_u8_d16_hi v48, v[vgprLocalReadAddrA] offset:36032 // L -> Reg lro=3072 swapByteOffset=32768 ti=32 vIdx=0 rIdx=2 oIdx=0 buffer=0 iui=0
s_subb_u32 s[sgprShadowLimitB+1], s[sgprShadowLimitB+1], 0 // limit -= inc)
s_cmp_eq_u32 s[sgprShadowLimitB+1], 0              // are we within 2^32?
s_cmov_b32 s[sgprSrdB+2], s[sgprShadowLimitB+0]    // Move shadow to real if we are within 2^32
s_waitcnt lgkmcnt(3)                               // lgkmcnt=0 vmcnt=-1wait for prior local read local write old=0, new=3 newLW=0 newLR=3
/* pack scheduling: packAIdx:3, packBIdx:3 */
_v_lshl_or_b32 v[vgprValuA_X1_I0+0], v65, 0x8, v[vgprValuA_X1_I0+0] // pack two int8 Vgpr to one half Vgpr
_v_lshl_or_b32 v66, v67, 0x8, v66                  // pack two int8 Vgpr to one half Vgpr
v_or_b32 v[vgprValuA_X1_I0+0], v[vgprValuA_X1_I0+0], v66 // pack two half Vgpr to one Vgpr
_v_lshl_or_b32 v[vgprValuB_X1_I0+0], v74, 0x8, v[vgprValuB_X1_I0+0] // pack two int8 Vgpr to one half Vgpr
_v_lshl_or_b32 v75, v76, 0x8, v75                  // pack two int8 Vgpr to one half Vgpr
v_or_b32 v[vgprValuB_X1_I0+0], v[vgprValuB_X1_I0+0], v75 // pack two half Vgpr to one Vgpr
_v_lshl_or_b32 v[vgprValuA_X1_I0+1], v68, 0x8, v[vgprValuA_X1_I0+1] // pack two int8 Vgpr to one half Vgpr
_v_lshl_or_b32 v69, v70, 0x8, v69                  // pack two int8 Vgpr to one half Vgpr
v_or_b32 v[vgprValuA_X1_I0+1], v[vgprValuA_X1_I0+1], v69 // pack two half Vgpr to one Vgpr
v_mfma_i32_16x16x16i8 a[0+0:3+0], v[vgprValuA_X1_I0+0+0+0], v[vgprValuB_X1_I0+0+0+0], a[0:3]
/*  mfmaIndex:10  */
_ds_load_u8_d16_hi v49, v[vgprLocalReadAddrA] offset:36128 // L -> Reg lro=3072 swapByteOffset=32768 ti=32 vIdx=0 rIdx=3 oIdx=0 buffer=0 iui=0
_ds_load_u8 v[vgprValuB_X0_I0+0], v[vgprLocalReadAddrB] offset:35840 // L -> Reg lro=3072 swapByteOffset=32768 ti=32 vIdx=0 rIdx=0 oIdx=0 buffer=0 iui=0
_ds_load_u8 v56, v[vgprLocalReadAddrB] offset:35936 // L -> Reg lro=3072 swapByteOffset=32768 ti=32 vIdx=0 rIdx=1 oIdx=0 buffer=0 iui=0
/* pack scheduling: packAIdx:6, packBIdx:3 */
_v_lshl_or_b32 v[vgprValuA_X1_I0+2], v71, 0x8, v[vgprValuA_X1_I0+2] // pack two int8 Vgpr to one half Vgpr
_v_lshl_or_b32 v72, v73, 0x8, v72                  // pack two int8 Vgpr to one half Vgpr
v_or_b32 v[vgprValuA_X1_I0+2], v[vgprValuA_X1_I0+2], v72 // pack two half Vgpr to one Vgpr
_v_lshl_or_b32 v[vgprValuB_X1_I0+1], v77, 0x8, v[vgprValuB_X1_I0+1] // pack two int8 Vgpr to one half Vgpr
_v_lshl_or_b32 v78, v79, 0x8, v78                  // pack two int8 Vgpr to one half Vgpr
v_or_b32 v[vgprValuB_X1_I0+1], v[vgprValuB_X1_I0+1], v78 // pack two half Vgpr to one Vgpr
v_mfma_i32_16x16x16i8 a[4+0:7+0], v[vgprValuA_X1_I0+1+0+0], v[vgprValuB_X1_I0+0+0+0], a[4:7]
/*  mfmaIndex:11  */
_ds_load_u8_d16_hi v57, v[vgprLocalReadAddrB] offset:36032 // L -> Reg lro=3072 swapByteOffset=32768 ti=32 vIdx=0 rIdx=2 oIdx=0 buffer=0 iui=0
_ds_load_u8_d16_hi v58, v[vgprLocalReadAddrB] offset:36128 // L -> Reg lro=3072 swapByteOffset=32768 ti=32 vIdx=0 rIdx=3 oIdx=0 buffer=0 iui=0
_ds_load_u8 v[vgprValuA_X0_I0+1], v[vgprLocalReadAddrA] offset:35872 // L -> Reg lro=3072 swapByteOffset=32768 ti=32 vIdx=1 rIdx=0 oIdx=0 buffer=0 iui=0
/* pack scheduling: packAIdx:9, packBIdx:3 */
_v_lshl_or_b32 v[vgprValuB_X1_I0+2], v80, 0x8, v[vgprValuB_X1_I0+2] // pack two int8 Vgpr to one half Vgpr
_v_lshl_or_b32 v81, v82, 0x8, v81                  // pack two int8 Vgpr to one half Vgpr
v_or_b32 v[vgprValuB_X1_I0+2], v[vgprValuB_X1_I0+2], v81 // pack two half Vgpr to one Vgpr
v_mfma_i32_16x16x16i8 a[8+0:11+0], v[vgprValuA_X1_I0+2+0+0], v[vgprValuB_X1_I0+0+0+0], a[8:11]
/*  mfmaIndex:12  */
_ds_load_u8 v50, v[vgprLocalReadAddrA] offset:35968 // L -> Reg lro=3072 swapByteOffset=32768 ti=32 vIdx=1 rIdx=1 oIdx=0 buffer=0 iui=0
_ds_load_u8_d16_hi v51, v[vgprLocalReadAddrA] offset:36064 // L -> Reg lro=3072 swapByteOffset=32768 ti=32 vIdx=1 rIdx=2 oIdx=0 buffer=0 iui=0
_ds_load_u8_d16_hi v52, v[vgprLocalReadAddrA] offset:36160 // L -> Reg lro=3072 swapByteOffset=32768 ti=32 vIdx=1 rIdx=3 oIdx=0 buffer=0 iui=0
v_mfma_i32_16x16x16i8 a[20+0:23+0], v[vgprValuA_X1_I0+2+0+0], v[vgprValuB_X1_I0+1+0+0], a[20:23]
/*  mfmaIndex:13  */
_ds_load_u8 v[vgprValuA_X0_I0+2], v[vgprLocalReadAddrA] offset:35904 // L -> Reg lro=3072 swapByteOffset=32768 ti=32 vIdx=2 rIdx=0 oIdx=0 buffer=0 iui=0
_ds_load_u8 v53, v[vgprLocalReadAddrA] offset:36000 // L -> Reg lro=3072 swapByteOffset=32768 ti=32 vIdx=2 rIdx=1 oIdx=0 buffer=0 iui=0
_ds_load_u8_d16_hi v54, v[vgprLocalReadAddrA] offset:36096 // L -> Reg lro=3072 swapByteOffset=32768 ti=32 vIdx=2 rIdx=2 oIdx=0 buffer=0 iui=0
v_mfma_i32_16x16x16i8 a[16+0:19+0], v[vgprValuA_X1_I0+1+0+0], v[vgprValuB_X1_I0+1+0+0], a[16:19]
/*  mfmaIndex:14  */
_ds_load_u8_d16_hi v55, v[vgprLocalReadAddrA] offset:36192 // L -> Reg lro=3072 swapByteOffset=32768 ti=32 vIdx=2 rIdx=3 oIdx=0 buffer=0 iui=0
_ds_load_u8 v[vgprValuB_X0_I0+1], v[vgprLocalReadAddrB] offset:35872 // L -> Reg lro=3072 swapByteOffset=32768 ti=32 vIdx=1 rIdx=0 oIdx=0 buffer=0 iui=0
_ds_load_u8 v59, v[vgprLocalReadAddrB] offset:35968 // L -> Reg lro=3072 swapByteOffset=32768 ti=32 vIdx=1 rIdx=1 oIdx=0 buffer=0 iui=0
v_mfma_i32_16x16x16i8 a[12+0:15+0], v[vgprValuA_X1_I0+0+0+0], v[vgprValuB_X1_I0+1+0+0], a[12:15]
/*  mfmaIndex:15  */
_ds_load_u8_d16_hi v60, v[vgprLocalReadAddrB] offset:36064 // L -> Reg lro=3072 swapByteOffset=32768 ti=32 vIdx=1 rIdx=2 oIdx=0 buffer=0 iui=0
_ds_load_u8_d16_hi v61, v[vgprLocalReadAddrB] offset:36160 // L -> Reg lro=3072 swapByteOffset=32768 ti=32 vIdx=1 rIdx=3 oIdx=0 buffer=0 iui=0
v_mfma_i32_16x16x16i8 a[24+0:27+0], v[vgprValuA_X1_I0+0+0+0], v[vgprValuB_X1_I0+2+0+0], a[24:27]
/*  mfmaIndex:16  */
_ds_load_u8 v[vgprValuB_X0_I0+2], v[vgprLocalReadAddrB] offset:35904 // L -> Reg lro=3072 swapByteOffset=32768 ti=32 vIdx=2 rIdx=0 oIdx=0 buffer=0 iui=0
_ds_load_u8 v62, v[vgprLocalReadAddrB] offset:36000 // L -> Reg lro=3072 swapByteOffset=32768 ti=32 vIdx=2 rIdx=1 oIdx=0 buffer=0 iui=0
v_mfma_i32_16x16x16i8 a[28+0:31+0], v[vgprValuA_X1_I0+1+0+0], v[vgprValuB_X1_I0+2+0+0], a[28:31]
/*  mfmaIndex:17  */
_ds_load_u8_d16_hi v63, v[vgprLocalReadAddrB] offset:36096 // L -> Reg lro=3072 swapByteOffset=32768 ti=32 vIdx=2 rIdx=2 oIdx=0 buffer=0 iui=0
_ds_load_u8_d16_hi v64, v[vgprLocalReadAddrB] offset:36192 // L -> Reg lro=3072 swapByteOffset=32768 ti=32 vIdx=2 rIdx=3 oIdx=0 buffer=0 iui=0
/* localReadsVacancy: latencyLeft 1 */
v_mfma_i32_16x16x16i8 a[32+0:35+0], v[vgprValuA_X1_I0+2+0+0], v[vgprValuB_X1_I0+2+0+0], a[32:35]
/* numPrefetchIter=0 */
/* dataAtIterA=0 numReadsIterA=2 skipReadsIterA=1 readsPerIterA=12 */
/* dataAtIterB=0 numReadsIterB=2 skipReadsIterB=1 readsPerIterB=12 */


/* iter 2 */

/*  grEndMfmaIndex:5, lwStartMfmaIndex:55, lwEndMfmaIndex:60  */
/*  numMfmaForLR:8, barrierMfmaIndex:63 */
/*  mfmaIndex:18  */
_ds_load_u8 v[vgprValuA_X1_I0+0], v[vgprLocalReadAddrA] offset:37376 // L -> Reg lro=4608 swapByteOffset=32768 ti=32 vIdx=0 rIdx=0 oIdx=0 buffer=1 iui=0
_ds_load_u8 v65, v[vgprLocalReadAddrA] offset:37472 // L -> Reg lro=4608 swapByteOffset=32768 ti=32 vIdx=0 rIdx=1 oIdx=0 buffer=1 iui=0
_ds_load_u8_d16_hi v66, v[vgprLocalReadAddrA] offset:37568 // L -> Reg lro=4608 swapByteOffset=32768 ti=32 vIdx=0 rIdx=2 oIdx=0 buffer=1 iui=0
s_waitcnt lgkmcnt(3)                               // lgkmcnt=0 vmcnt=-1wait for prior local read local write old=0, new=3 newLW=0 newLR=3
/* pack scheduling: packAIdx:3, packBIdx:3 */
_v_lshl_or_b32 v[vgprValuA_X0_I0+0], v47, 0x8, v[vgprValuA_X0_I0+0] // pack two int8 Vgpr to one half Vgpr
_v_lshl_or_b32 v48, v49, 0x8, v48                  // pack two int8 Vgpr to one half Vgpr
v_or_b32 v[vgprValuA_X0_I0+0], v[vgprValuA_X0_I0+0], v48 // pack two half Vgpr to one Vgpr
_v_lshl_or_b32 v[vgprValuB_X0_I0+0], v56, 0x8, v[vgprValuB_X0_I0+0] // pack two int8 Vgpr to one half Vgpr
_v_lshl_or_b32 v57, v58, 0x8, v57                  // pack two int8 Vgpr to one half Vgpr
v_or_b32 v[vgprValuB_X0_I0+0], v[vgprValuB_X0_I0+0], v57 // pack two half Vgpr to one Vgpr
_v_lshl_or_b32 v[vgprValuA_X0_I0+1], v50, 0x8, v[vgprValuA_X0_I0+1] // pack two int8 Vgpr to one half Vgpr
_v_lshl_or_b32 v51, v52, 0x8, v51                  // pack two int8 Vgpr to one half Vgpr
v_or_b32 v[vgprValuA_X0_I0+1], v[vgprValuA_X0_I0+1], v51 // pack two half Vgpr to one Vgpr
v_mfma_i32_16x16x16i8 a[0+0:3+0], v[vgprValuA_X0_I0+0+0+0], v[vgprValuB_X0_I0+0+0+0], a[0:3]
/*  mfmaIndex:19  */
_ds_load_u8_d16_hi v67, v[vgprLocalReadAddrA] offset:37664 // L -> Reg lro=4608 swapByteOffset=32768 ti=32 vIdx=0 rIdx=3 oIdx=0 buffer=1 iui=0
_ds_load_u8 v[vgprValuB_X1_I0+0], v[vgprLocalReadAddrB] offset:37376 // L -> Reg lro=4608 swapByteOffset=32768 ti=32 vIdx=0 rIdx=0 oIdx=0 buffer=1 iui=0
_ds_load_u8 v74, v[vgprLocalReadAddrB] offset:37472 // L -> Reg lro=4608 swapByteOffset=32768 ti=32 vIdx=0 rIdx=1 oIdx=0 buffer=1 iui=0
/* pack scheduling: packAIdx:6, packBIdx:3 */
_v_lshl_or_b32 v[vgprValuA_X0_I0+2], v53, 0x8, v[vgprValuA_X0_I0+2] // pack two int8 Vgpr to one half Vgpr
_v_lshl_or_b32 v54, v55, 0x8, v54                  // pack two int8 Vgpr to one half Vgpr
v_or_b32 v[vgprValuA_X0_I0+2], v[vgprValuA_X0_I0+2], v54 // pack two half Vgpr to one Vgpr
_v_lshl_or_b32 v[vgprValuB_X0_I0+1], v59, 0x8, v[vgprValuB_X0_I0+1] // pack two int8 Vgpr to one half Vgpr
_v_lshl_or_b32 v60, v61, 0x8, v60                  // pack two int8 Vgpr to one half Vgpr
v_or_b32 v[vgprValuB_X0_I0+1], v[vgprValuB_X0_I0+1], v60 // pack two half Vgpr to one Vgpr
v_mfma_i32_16x16x16i8 a[4+0:7+0], v[vgprValuA_X0_I0+1+0+0], v[vgprValuB_X0_I0+0+0+0], a[4:7]
/*  mfmaIndex:20  */
_ds_load_u8_d16_hi v75, v[vgprLocalReadAddrB] offset:37568 // L -> Reg lro=4608 swapByteOffset=32768 ti=32 vIdx=0 rIdx=2 oIdx=0 buffer=1 iui=0
_ds_load_u8_d16_hi v76, v[vgprLocalReadAddrB] offset:37664 // L -> Reg lro=4608 swapByteOffset=32768 ti=32 vIdx=0 rIdx=3 oIdx=0 buffer=1 iui=0
_ds_load_u8 v[vgprValuA_X1_I0+1], v[vgprLocalReadAddrA] offset:37408 // L -> Reg lro=4608 swapByteOffset=32768 ti=32 vIdx=1 rIdx=0 oIdx=0 buffer=1 iui=0
/* pack scheduling: packAIdx:9, packBIdx:3 */
_v_lshl_or_b32 v[vgprValuB_X0_I0+2], v62, 0x8, v[vgprValuB_X0_I0+2] // pack two int8 Vgpr to one half Vgpr
_v_lshl_or_b32 v63, v64, 0x8, v63                  // pack two int8 Vgpr to one half Vgpr
v_or_b32 v[vgprValuB_X0_I0+2], v[vgprValuB_X0_I0+2], v63 // pack two half Vgpr to one Vgpr
v_mfma_i32_16x16x16i8 a[8+0:11+0], v[vgprValuA_X0_I0+2+0+0], v[vgprValuB_X0_I0+0+0+0], a[8:11]
/*  mfmaIndex:21  */
_ds_load_u8 v68, v[vgprLocalReadAddrA] offset:37504 // L -> Reg lro=4608 swapByteOffset=32768 ti=32 vIdx=1 rIdx=1 oIdx=0 buffer=1 iui=0
_ds_load_u8_d16_hi v69, v[vgprLocalReadAddrA] offset:37600 // L -> Reg lro=4608 swapByteOffset=32768 ti=32 vIdx=1 rIdx=2 oIdx=0 buffer=1 iui=0
_ds_load_u8_d16_hi v70, v[vgprLocalReadAddrA] offset:37696 // L -> Reg lro=4608 swapByteOffset=32768 ti=32 vIdx=1 rIdx=3 oIdx=0 buffer=1 iui=0
v_mfma_i32_16x16x16i8 a[20+0:23+0], v[vgprValuA_X0_I0+2+0+0], v[vgprValuB_X0_I0+1+0+0], a[20:23]
/*  mfmaIndex:22  */
_ds_load_u8 v[vgprValuA_X1_I0+2], v[vgprLocalReadAddrA] offset:37440 // L -> Reg lro=4608 swapByteOffset=32768 ti=32 vIdx=2 rIdx=0 oIdx=0 buffer=1 iui=0
_ds_load_u8 v71, v[vgprLocalReadAddrA] offset:37536 // L -> Reg lro=4608 swapByteOffset=32768 ti=32 vIdx=2 rIdx=1 oIdx=0 buffer=1 iui=0
_ds_load_u8_d16_hi v72, v[vgprLocalReadAddrA] offset:37632 // L -> Reg lro=4608 swapByteOffset=32768 ti=32 vIdx=2 rIdx=2 oIdx=0 buffer=1 iui=0
v_mfma_i32_16x16x16i8 a[16+0:19+0], v[vgprValuA_X0_I0+1+0+0], v[vgprValuB_X0_I0+1+0+0], a[16:19]
/*  mfmaIndex:23  */
_ds_load_u8_d16_hi v73, v[vgprLocalReadAddrA] offset:37728 // L -> Reg lro=4608 swapByteOffset=32768 ti=32 vIdx=2 rIdx=3 oIdx=0 buffer=1 iui=0
_ds_load_u8 v[vgprValuB_X1_I0+1], v[vgprLocalReadAddrB] offset:37408 // L -> Reg lro=4608 swapByteOffset=32768 ti=32 vIdx=1 rIdx=0 oIdx=0 buffer=1 iui=0
_ds_load_u8 v77, v[vgprLocalReadAddrB] offset:37504 // L -> Reg lro=4608 swapByteOffset=32768 ti=32 vIdx=1 rIdx=1 oIdx=0 buffer=1 iui=0
v_mfma_i32_16x16x16i8 a[12+0:15+0], v[vgprValuA_X0_I0+0+0+0], v[vgprValuB_X0_I0+1+0+0], a[12:15]
/*  mfmaIndex:24  */
_ds_load_u8_d16_hi v78, v[vgprLocalReadAddrB] offset:37600 // L -> Reg lro=4608 swapByteOffset=32768 ti=32 vIdx=1 rIdx=2 oIdx=0 buffer=1 iui=0
_ds_load_u8_d16_hi v79, v[vgprLocalReadAddrB] offset:37696 // L -> Reg lro=4608 swapByteOffset=32768 ti=32 vIdx=1 rIdx=3 oIdx=0 buffer=1 iui=0
v_mfma_i32_16x16x16i8 a[24+0:27+0], v[vgprValuA_X0_I0+0+0+0], v[vgprValuB_X0_I0+2+0+0], a[24:27]
/*  mfmaIndex:25  */
_ds_load_u8 v[vgprValuB_X1_I0+2], v[vgprLocalReadAddrB] offset:37440 // L -> Reg lro=4608 swapByteOffset=32768 ti=32 vIdx=2 rIdx=0 oIdx=0 buffer=1 iui=0
_ds_load_u8 v80, v[vgprLocalReadAddrB] offset:37536 // L -> Reg lro=4608 swapByteOffset=32768 ti=32 vIdx=2 rIdx=1 oIdx=0 buffer=1 iui=0
v_mfma_i32_16x16x16i8 a[28+0:31+0], v[vgprValuA_X0_I0+1+0+0], v[vgprValuB_X0_I0+2+0+0], a[28:31]
/*  mfmaIndex:26  */
_ds_load_u8_d16_hi v81, v[vgprLocalReadAddrB] offset:37632 // L -> Reg lro=4608 swapByteOffset=32768 ti=32 vIdx=2 rIdx=2 oIdx=0 buffer=1 iui=0
_ds_load_u8_d16_hi v82, v[vgprLocalReadAddrB] offset:37728 // L -> Reg lro=4608 swapByteOffset=32768 ti=32 vIdx=2 rIdx=3 oIdx=0 buffer=1 iui=0
/* localReadsVacancy: latencyLeft 1 */
v_mfma_i32_16x16x16i8 a[32+0:35+0], v[vgprValuA_X0_I0+2+0+0], v[vgprValuB_X0_I0+2+0+0], a[32:35]
/* numPrefetchIter=0 */
/* dataAtIterA=1 numReadsIterA=3 skipReadsIterA=1 readsPerIterA=12 */
/* dataAtIterB=1 numReadsIterB=3 skipReadsIterB=1 readsPerIterB=12 */


/* iter 3 */

/*  grEndMfmaIndex:5, lwStartMfmaIndex:55, lwEndMfmaIndex:60  */
/*  numMfmaForLR:8, barrierMfmaIndex:63 */
/*  mfmaIndex:27  */
_ds_load_u8 v[vgprValuA_X0_I0+0], v[vgprLocalReadAddrA] offset:38912 // L -> Reg lro=6144 swapByteOffset=32768 ti=32 vIdx=0 rIdx=0 oIdx=0 buffer=0 iui=0
_ds_load_u8 v47, v[vgprLocalReadAddrA] offset:39008 // L -> Reg lro=6144 swapByteOffset=32768 ti=32 vIdx=0 rIdx=1 oIdx=0 buffer=0 iui=0
_ds_load_u8_d16_hi v48, v[vgprLocalReadAddrA] offset:39104 // L -> Reg lro=6144 swapByteOffset=32768 ti=32 vIdx=0 rIdx=2 oIdx=0 buffer=0 iui=0
s_waitcnt lgkmcnt(3)                               // lgkmcnt=0 vmcnt=-1wait for prior local read local write old=0, new=3 newLW=0 newLR=3
/* pack scheduling: packAIdx:3, packBIdx:3 */
_v_lshl_or_b32 v[vgprValuA_X1_I0+0], v65, 0x8, v[vgprValuA_X1_I0+0] // pack two int8 Vgpr to one half Vgpr
_v_lshl_or_b32 v66, v67, 0x8, v66                  // pack two int8 Vgpr to one half Vgpr
v_or_b32 v[vgprValuA_X1_I0+0], v[vgprValuA_X1_I0+0], v66 // pack two half Vgpr to one Vgpr
_v_lshl_or_b32 v[vgprValuB_X1_I0+0], v74, 0x8, v[vgprValuB_X1_I0+0] // pack two int8 Vgpr to one half Vgpr
_v_lshl_or_b32 v75, v76, 0x8, v75                  // pack two int8 Vgpr to one half Vgpr
v_or_b32 v[vgprValuB_X1_I0+0], v[vgprValuB_X1_I0+0], v75 // pack two half Vgpr to one Vgpr
_v_lshl_or_b32 v[vgprValuA_X1_I0+1], v68, 0x8, v[vgprValuA_X1_I0+1] // pack two int8 Vgpr to one half Vgpr
_v_lshl_or_b32 v69, v70, 0x8, v69                  // pack two int8 Vgpr to one half Vgpr
v_or_b32 v[vgprValuA_X1_I0+1], v[vgprValuA_X1_I0+1], v69 // pack two half Vgpr to one Vgpr
v_mfma_i32_16x16x16i8 a[0+0:3+0], v[vgprValuA_X1_I0+0+0+0], v[vgprValuB_X1_I0+0+0+0], a[0:3]
/*  mfmaIndex:28  */
_ds_load_u8_d16_hi v49, v[vgprLocalReadAddrA] offset:39200 // L -> Reg lro=6144 swapByteOffset=32768 ti=32 vIdx=0 rIdx=3 oIdx=0 buffer=0 iui=0
_ds_load_u8 v[vgprValuB_X0_I0+0], v[vgprLocalReadAddrB] offset:38912 // L -> Reg lro=6144 swapByteOffset=32768 ti=32 vIdx=0 rIdx=0 oIdx=0 buffer=0 iui=0
_ds_load_u8 v56, v[vgprLocalReadAddrB] offset:39008 // L -> Reg lro=6144 swapByteOffset=32768 ti=32 vIdx=0 rIdx=1 oIdx=0 buffer=0 iui=0
/* pack scheduling: packAIdx:6, packBIdx:3 */
_v_lshl_or_b32 v[vgprValuA_X1_I0+2], v71, 0x8, v[vgprValuA_X1_I0+2] // pack two int8 Vgpr to one half Vgpr
_v_lshl_or_b32 v72, v73, 0x8, v72                  // pack two int8 Vgpr to one half Vgpr
v_or_b32 v[vgprValuA_X1_I0+2], v[vgprValuA_X1_I0+2], v72 // pack two half Vgpr to one Vgpr
_v_lshl_or_b32 v[vgprValuB_X1_I0+1], v77, 0x8, v[vgprValuB_X1_I0+1] // pack two int8 Vgpr to one half Vgpr
_v_lshl_or_b32 v78, v79, 0x8, v78                  // pack two int8 Vgpr to one half Vgpr
v_or_b32 v[vgprValuB_X1_I0+1], v[vgprValuB_X1_I0+1], v78 // pack two half Vgpr to one Vgpr
v_mfma_i32_16x16x16i8 a[4+0:7+0], v[vgprValuA_X1_I0+1+0+0], v[vgprValuB_X1_I0+0+0+0], a[4:7]
/*  mfmaIndex:29  */
_ds_load_u8_d16_hi v57, v[vgprLocalReadAddrB] offset:39104 // L -> Reg lro=6144 swapByteOffset=32768 ti=32 vIdx=0 rIdx=2 oIdx=0 buffer=0 iui=0
_ds_load_u8_d16_hi v58, v[vgprLocalReadAddrB] offset:39200 // L -> Reg lro=6144 swapByteOffset=32768 ti=32 vIdx=0 rIdx=3 oIdx=0 buffer=0 iui=0
_ds_load_u8 v[vgprValuA_X0_I0+1], v[vgprLocalReadAddrA] offset:38944 // L -> Reg lro=6144 swapByteOffset=32768 ti=32 vIdx=1 rIdx=0 oIdx=0 buffer=0 iui=0
/* pack scheduling: packAIdx:9, packBIdx:3 */
_v_lshl_or_b32 v[vgprValuB_X1_I0+2], v80, 0x8, v[vgprValuB_X1_I0+2] // pack two int8 Vgpr to one half Vgpr
_v_lshl_or_b32 v81, v82, 0x8, v81                  // pack two int8 Vgpr to one half Vgpr
v_or_b32 v[vgprValuB_X1_I0+2], v[vgprValuB_X1_I0+2], v81 // pack two half Vgpr to one Vgpr
v_mfma_i32_16x16x16i8 a[8+0:11+0], v[vgprValuA_X1_I0+2+0+0], v[vgprValuB_X1_I0+0+0+0], a[8:11]
/*  mfmaIndex:30  */
_ds_load_u8 v50, v[vgprLocalReadAddrA] offset:39040 // L -> Reg lro=6144 swapByteOffset=32768 ti=32 vIdx=1 rIdx=1 oIdx=0 buffer=0 iui=0
_ds_load_u8_d16_hi v51, v[vgprLocalReadAddrA] offset:39136 // L -> Reg lro=6144 swapByteOffset=32768 ti=32 vIdx=1 rIdx=2 oIdx=0 buffer=0 iui=0
_ds_load_u8_d16_hi v52, v[vgprLocalReadAddrA] offset:39232 // L -> Reg lro=6144 swapByteOffset=32768 ti=32 vIdx=1 rIdx=3 oIdx=0 buffer=0 iui=0
v_mfma_i32_16x16x16i8 a[20+0:23+0], v[vgprValuA_X1_I0+2+0+0], v[vgprValuB_X1_I0+1+0+0], a[20:23]
/*  mfmaIndex:31  */
_ds_load_u8 v[vgprValuA_X0_I0+2], v[vgprLocalReadAddrA] offset:38976 // L -> Reg lro=6144 swapByteOffset=32768 ti=32 vIdx=2 rIdx=0 oIdx=0 buffer=0 iui=0
_ds_load_u8 v53, v[vgprLocalReadAddrA] offset:39072 // L -> Reg lro=6144 swapByteOffset=32768 ti=32 vIdx=2 rIdx=1 oIdx=0 buffer=0 iui=0
_ds_load_u8_d16_hi v54, v[vgprLocalReadAddrA] offset:39168 // L -> Reg lro=6144 swapByteOffset=32768 ti=32 vIdx=2 rIdx=2 oIdx=0 buffer=0 iui=0
v_mfma_i32_16x16x16i8 a[16+0:19+0], v[vgprValuA_X1_I0+1+0+0], v[vgprValuB_X1_I0+1+0+0], a[16:19]
/*  mfmaIndex:32  */
_ds_load_u8_d16_hi v55, v[vgprLocalReadAddrA] offset:39264 // L -> Reg lro=6144 swapByteOffset=32768 ti=32 vIdx=2 rIdx=3 oIdx=0 buffer=0 iui=0
_ds_load_u8 v[vgprValuB_X0_I0+1], v[vgprLocalReadAddrB] offset:38944 // L -> Reg lro=6144 swapByteOffset=32768 ti=32 vIdx=1 rIdx=0 oIdx=0 buffer=0 iui=0
_ds_load_u8 v59, v[vgprLocalReadAddrB] offset:39040 // L -> Reg lro=6144 swapByteOffset=32768 ti=32 vIdx=1 rIdx=1 oIdx=0 buffer=0 iui=0
v_mfma_i32_16x16x16i8 a[12+0:15+0], v[vgprValuA_X1_I0+0+0+0], v[vgprValuB_X1_I0+1+0+0], a[12:15]
/*  mfmaIndex:33  */
_ds_load_u8_d16_hi v60, v[vgprLocalReadAddrB] offset:39136 // L -> Reg lro=6144 swapByteOffset=32768 ti=32 vIdx=1 rIdx=2 oIdx=0 buffer=0 iui=0
_ds_load_u8_d16_hi v61, v[vgprLocalReadAddrB] offset:39232 // L -> Reg lro=6144 swapByteOffset=32768 ti=32 vIdx=1 rIdx=3 oIdx=0 buffer=0 iui=0
v_mfma_i32_16x16x16i8 a[24+0:27+0], v[vgprValuA_X1_I0+0+0+0], v[vgprValuB_X1_I0+2+0+0], a[24:27]
/*  mfmaIndex:34  */
_ds_load_u8 v[vgprValuB_X0_I0+2], v[vgprLocalReadAddrB] offset:38976 // L -> Reg lro=6144 swapByteOffset=32768 ti=32 vIdx=2 rIdx=0 oIdx=0 buffer=0 iui=0
_ds_load_u8 v62, v[vgprLocalReadAddrB] offset:39072 // L -> Reg lro=6144 swapByteOffset=32768 ti=32 vIdx=2 rIdx=1 oIdx=0 buffer=0 iui=0
v_mfma_i32_16x16x16i8 a[28+0:31+0], v[vgprValuA_X1_I0+1+0+0], v[vgprValuB_X1_I0+2+0+0], a[28:31]
/*  mfmaIndex:35  */
_ds_load_u8_d16_hi v63, v[vgprLocalReadAddrB] offset:39168 // L -> Reg lro=6144 swapByteOffset=32768 ti=32 vIdx=2 rIdx=2 oIdx=0 buffer=0 iui=0
_ds_load_u8_d16_hi v64, v[vgprLocalReadAddrB] offset:39264 // L -> Reg lro=6144 swapByteOffset=32768 ti=32 vIdx=2 rIdx=3 oIdx=0 buffer=0 iui=0
/* localReadsVacancy: latencyLeft 1 */
v_mfma_i32_16x16x16i8 a[32+0:35+0], v[vgprValuA_X1_I0+2+0+0], v[vgprValuB_X1_I0+2+0+0], a[32:35]
/* numPrefetchIter=0 */
/* dataAtIterA=2 numReadsIterA=4 skipReadsIterA=1 readsPerIterA=12 */
/* dataAtIterB=2 numReadsIterB=4 skipReadsIterB=1 readsPerIterB=12 */


/* iter 4 */

/*  grEndMfmaIndex:5, lwStartMfmaIndex:55, lwEndMfmaIndex:60  */
/*  numMfmaForLR:8, barrierMfmaIndex:63 */
/*  mfmaIndex:36  */
_ds_load_u8 v[vgprValuA_X1_I0+0], v[vgprLocalReadAddrA] offset:40448 // L -> Reg lro=7680 swapByteOffset=32768 ti=32 vIdx=0 rIdx=0 oIdx=0 buffer=1 iui=0
_ds_load_u8 v65, v[vgprLocalReadAddrA] offset:40544 // L -> Reg lro=7680 swapByteOffset=32768 ti=32 vIdx=0 rIdx=1 oIdx=0 buffer=1 iui=0
_ds_load_u8_d16_hi v66, v[vgprLocalReadAddrA] offset:40640 // L -> Reg lro=7680 swapByteOffset=32768 ti=32 vIdx=0 rIdx=2 oIdx=0 buffer=1 iui=0
s_waitcnt lgkmcnt(3)                               // lgkmcnt=0 vmcnt=-1wait for prior local read local write old=0, new=3 newLW=0 newLR=3
/* pack scheduling: packAIdx:3, packBIdx:3 */
_v_lshl_or_b32 v[vgprValuA_X0_I0+0], v47, 0x8, v[vgprValuA_X0_I0+0] // pack two int8 Vgpr to one half Vgpr
_v_lshl_or_b32 v48, v49, 0x8, v48                  // pack two int8 Vgpr to one half Vgpr
v_or_b32 v[vgprValuA_X0_I0+0], v[vgprValuA_X0_I0+0], v48 // pack two half Vgpr to one Vgpr
_v_lshl_or_b32 v[vgprValuB_X0_I0+0], v56, 0x8, v[vgprValuB_X0_I0+0] // pack two int8 Vgpr to one half Vgpr
_v_lshl_or_b32 v57, v58, 0x8, v57                  // pack two int8 Vgpr to one half Vgpr
v_or_b32 v[vgprValuB_X0_I0+0], v[vgprValuB_X0_I0+0], v57 // pack two half Vgpr to one Vgpr
_v_lshl_or_b32 v[vgprValuA_X0_I0+1], v50, 0x8, v[vgprValuA_X0_I0+1] // pack two int8 Vgpr to one half Vgpr
_v_lshl_or_b32 v51, v52, 0x8, v51                  // pack two int8 Vgpr to one half Vgpr
v_or_b32 v[vgprValuA_X0_I0+1], v[vgprValuA_X0_I0+1], v51 // pack two half Vgpr to one Vgpr
v_mfma_i32_16x16x16i8 a[0+0:3+0], v[vgprValuA_X0_I0+0+0+0], v[vgprValuB_X0_I0+0+0+0], a[0:3]
/*  mfmaIndex:37  */
_ds_load_u8_d16_hi v67, v[vgprLocalReadAddrA] offset:40736 // L -> Reg lro=7680 swapByteOffset=32768 ti=32 vIdx=0 rIdx=3 oIdx=0 buffer=1 iui=0
_ds_load_u8 v[vgprValuB_X1_I0+0], v[vgprLocalReadAddrB] offset:40448 // L -> Reg lro=7680 swapByteOffset=32768 ti=32 vIdx=0 rIdx=0 oIdx=0 buffer=1 iui=0
_ds_load_u8 v74, v[vgprLocalReadAddrB] offset:40544 // L -> Reg lro=7680 swapByteOffset=32768 ti=32 vIdx=0 rIdx=1 oIdx=0 buffer=1 iui=0
/* pack scheduling: packAIdx:6, packBIdx:3 */
_v_lshl_or_b32 v[vgprValuA_X0_I0+2], v53, 0x8, v[vgprValuA_X0_I0+2] // pack two int8 Vgpr to one half Vgpr
_v_lshl_or_b32 v54, v55, 0x8, v54                  // pack two int8 Vgpr to one half Vgpr
v_or_b32 v[vgprValuA_X0_I0+2], v[vgprValuA_X0_I0+2], v54 // pack two half Vgpr to one Vgpr
_v_lshl_or_b32 v[vgprValuB_X0_I0+1], v59, 0x8, v[vgprValuB_X0_I0+1] // pack two int8 Vgpr to one half Vgpr
_v_lshl_or_b32 v60, v61, 0x8, v60                  // pack two int8 Vgpr to one half Vgpr
v_or_b32 v[vgprValuB_X0_I0+1], v[vgprValuB_X0_I0+1], v60 // pack two half Vgpr to one Vgpr
v_mfma_i32_16x16x16i8 a[4+0:7+0], v[vgprValuA_X0_I0+1+0+0], v[vgprValuB_X0_I0+0+0+0], a[4:7]
/*  mfmaIndex:38  */
_ds_load_u8_d16_hi v75, v[vgprLocalReadAddrB] offset:40640 // L -> Reg lro=7680 swapByteOffset=32768 ti=32 vIdx=0 rIdx=2 oIdx=0 buffer=1 iui=0
_ds_load_u8_d16_hi v76, v[vgprLocalReadAddrB] offset:40736 // L -> Reg lro=7680 swapByteOffset=32768 ti=32 vIdx=0 rIdx=3 oIdx=0 buffer=1 iui=0
_ds_load_u8 v[vgprValuA_X1_I0+1], v[vgprLocalReadAddrA] offset:40480 // L -> Reg lro=7680 swapByteOffset=32768 ti=32 vIdx=1 rIdx=0 oIdx=0 buffer=1 iui=0
/* pack scheduling: packAIdx:9, packBIdx:3 */
_v_lshl_or_b32 v[vgprValuB_X0_I0+2], v62, 0x8, v[vgprValuB_X0_I0+2] // pack two int8 Vgpr to one half Vgpr
_v_lshl_or_b32 v63, v64, 0x8, v63                  // pack two int8 Vgpr to one half Vgpr
v_or_b32 v[vgprValuB_X0_I0+2], v[vgprValuB_X0_I0+2], v63 // pack two half Vgpr to one Vgpr
v_mfma_i32_16x16x16i8 a[8+0:11+0], v[vgprValuA_X0_I0+2+0+0], v[vgprValuB_X0_I0+0+0+0], a[8:11]
/*  mfmaIndex:39  */
_ds_load_u8 v68, v[vgprLocalReadAddrA] offset:40576 // L -> Reg lro=7680 swapByteOffset=32768 ti=32 vIdx=1 rIdx=1 oIdx=0 buffer=1 iui=0
_ds_load_u8_d16_hi v69, v[vgprLocalReadAddrA] offset:40672 // L -> Reg lro=7680 swapByteOffset=32768 ti=32 vIdx=1 rIdx=2 oIdx=0 buffer=1 iui=0
_ds_load_u8_d16_hi v70, v[vgprLocalReadAddrA] offset:40768 // L -> Reg lro=7680 swapByteOffset=32768 ti=32 vIdx=1 rIdx=3 oIdx=0 buffer=1 iui=0
v_mfma_i32_16x16x16i8 a[20+0:23+0], v[vgprValuA_X0_I0+2+0+0], v[vgprValuB_X0_I0+1+0+0], a[20:23]
/*  mfmaIndex:40  */
_ds_load_u8 v[vgprValuA_X1_I0+2], v[vgprLocalReadAddrA] offset:40512 // L -> Reg lro=7680 swapByteOffset=32768 ti=32 vIdx=2 rIdx=0 oIdx=0 buffer=1 iui=0
_ds_load_u8 v71, v[vgprLocalReadAddrA] offset:40608 // L -> Reg lro=7680 swapByteOffset=32768 ti=32 vIdx=2 rIdx=1 oIdx=0 buffer=1 iui=0
_ds_load_u8_d16_hi v72, v[vgprLocalReadAddrA] offset:40704 // L -> Reg lro=7680 swapByteOffset=32768 ti=32 vIdx=2 rIdx=2 oIdx=0 buffer=1 iui=0
v_mfma_i32_16x16x16i8 a[16+0:19+0], v[vgprValuA_X0_I0+1+0+0], v[vgprValuB_X0_I0+1+0+0], a[16:19]
/*  mfmaIndex:41  */
_ds_load_u8_d16_hi v73, v[vgprLocalReadAddrA] offset:40800 // L -> Reg lro=7680 swapByteOffset=32768 ti=32 vIdx=2 rIdx=3 oIdx=0 buffer=1 iui=0
_ds_load_u8 v[vgprValuB_X1_I0+1], v[vgprLocalReadAddrB] offset:40480 // L -> Reg lro=7680 swapByteOffset=32768 ti=32 vIdx=1 rIdx=0 oIdx=0 buffer=1 iui=0
_ds_load_u8 v77, v[vgprLocalReadAddrB] offset:40576 // L -> Reg lro=7680 swapByteOffset=32768 ti=32 vIdx=1 rIdx=1 oIdx=0 buffer=1 iui=0
v_mfma_i32_16x16x16i8 a[12+0:15+0], v[vgprValuA_X0_I0+0+0+0], v[vgprValuB_X0_I0+1+0+0], a[12:15]
/*  mfmaIndex:42  */
_ds_load_u8_d16_hi v78, v[vgprLocalReadAddrB] offset:40672 // L -> Reg lro=7680 swapByteOffset=32768 ti=32 vIdx=1 rIdx=2 oIdx=0 buffer=1 iui=0
_ds_load_u8_d16_hi v79, v[vgprLocalReadAddrB] offset:40768 // L -> Reg lro=7680 swapByteOffset=32768 ti=32 vIdx=1 rIdx=3 oIdx=0 buffer=1 iui=0
v_mfma_i32_16x16x16i8 a[24+0:27+0], v[vgprValuA_X0_I0+0+0+0], v[vgprValuB_X0_I0+2+0+0], a[24:27]
/*  mfmaIndex:43  */
_ds_load_u8 v[vgprValuB_X1_I0+2], v[vgprLocalReadAddrB] offset:40512 // L -> Reg lro=7680 swapByteOffset=32768 ti=32 vIdx=2 rIdx=0 oIdx=0 buffer=1 iui=0
_ds_load_u8 v80, v[vgprLocalReadAddrB] offset:40608 // L -> Reg lro=7680 swapByteOffset=32768 ti=32 vIdx=2 rIdx=1 oIdx=0 buffer=1 iui=0
v_mfma_i32_16x16x16i8 a[28+0:31+0], v[vgprValuA_X0_I0+1+0+0], v[vgprValuB_X0_I0+2+0+0], a[28:31]
/*  mfmaIndex:44  */
_ds_load_u8_d16_hi v81, v[vgprLocalReadAddrB] offset:40704 // L -> Reg lro=7680 swapByteOffset=32768 ti=32 vIdx=2 rIdx=2 oIdx=0 buffer=1 iui=0
_ds_load_u8_d16_hi v82, v[vgprLocalReadAddrB] offset:40800 // L -> Reg lro=7680 swapByteOffset=32768 ti=32 vIdx=2 rIdx=3 oIdx=0 buffer=1 iui=0
/* localReadsVacancy: latencyLeft 1 */
v_mfma_i32_16x16x16i8 a[32+0:35+0], v[vgprValuA_X0_I0+2+0+0], v[vgprValuB_X0_I0+2+0+0], a[32:35]
/* numPrefetchIter=0 */
/* dataAtIterA=3 numReadsIterA=5 skipReadsIterA=1 readsPerIterA=12 */
/* dataAtIterB=3 numReadsIterB=5 skipReadsIterB=1 readsPerIterB=12 */


/* iter 5 */

/*  grEndMfmaIndex:5, lwStartMfmaIndex:55, lwEndMfmaIndex:60  */
/*  numMfmaForLR:8, barrierMfmaIndex:63 */
/*  mfmaIndex:45  */
_ds_load_u8 v[vgprValuA_X0_I0+0], v[vgprLocalReadAddrA] offset:41984 // L -> Reg lro=9216 swapByteOffset=32768 ti=32 vIdx=0 rIdx=0 oIdx=0 buffer=0 iui=0
_ds_load_u8 v47, v[vgprLocalReadAddrA] offset:42080 // L -> Reg lro=9216 swapByteOffset=32768 ti=32 vIdx=0 rIdx=1 oIdx=0 buffer=0 iui=0
_ds_load_u8_d16_hi v48, v[vgprLocalReadAddrA] offset:42176 // L -> Reg lro=9216 swapByteOffset=32768 ti=32 vIdx=0 rIdx=2 oIdx=0 buffer=0 iui=0
s_waitcnt lgkmcnt(3)                               // lgkmcnt=0 vmcnt=-1wait for prior local read local write old=0, new=3 newLW=0 newLR=3
/* pack scheduling: packAIdx:3, packBIdx:3 */
_v_lshl_or_b32 v[vgprValuA_X1_I0+0], v65, 0x8, v[vgprValuA_X1_I0+0] // pack two int8 Vgpr to one half Vgpr
_v_lshl_or_b32 v66, v67, 0x8, v66                  // pack two int8 Vgpr to one half Vgpr
v_or_b32 v[vgprValuA_X1_I0+0], v[vgprValuA_X1_I0+0], v66 // pack two half Vgpr to one Vgpr
_v_lshl_or_b32 v[vgprValuB_X1_I0+0], v74, 0x8, v[vgprValuB_X1_I0+0] // pack two int8 Vgpr to one half Vgpr
_v_lshl_or_b32 v75, v76, 0x8, v75                  // pack two int8 Vgpr to one half Vgpr
v_or_b32 v[vgprValuB_X1_I0+0], v[vgprValuB_X1_I0+0], v75 // pack two half Vgpr to one Vgpr
_v_lshl_or_b32 v[vgprValuA_X1_I0+1], v68, 0x8, v[vgprValuA_X1_I0+1] // pack two int8 Vgpr to one half Vgpr
_v_lshl_or_b32 v69, v70, 0x8, v69                  // pack two int8 Vgpr to one half Vgpr
v_or_b32 v[vgprValuA_X1_I0+1], v[vgprValuA_X1_I0+1], v69 // pack two half Vgpr to one Vgpr
v_mfma_i32_16x16x16i8 a[0+0:3+0], v[vgprValuA_X1_I0+0+0+0], v[vgprValuB_X1_I0+0+0+0], a[0:3]
/*  mfmaIndex:46  */
_ds_load_u8_d16_hi v49, v[vgprLocalReadAddrA] offset:42272 // L -> Reg lro=9216 swapByteOffset=32768 ti=32 vIdx=0 rIdx=3 oIdx=0 buffer=0 iui=0
_ds_load_u8 v[vgprValuB_X0_I0+0], v[vgprLocalReadAddrB] offset:41984 // L -> Reg lro=9216 swapByteOffset=32768 ti=32 vIdx=0 rIdx=0 oIdx=0 buffer=0 iui=0
_ds_load_u8 v56, v[vgprLocalReadAddrB] offset:42080 // L -> Reg lro=9216 swapByteOffset=32768 ti=32 vIdx=0 rIdx=1 oIdx=0 buffer=0 iui=0
/* pack scheduling: packAIdx:6, packBIdx:3 */
_v_lshl_or_b32 v[vgprValuA_X1_I0+2], v71, 0x8, v[vgprValuA_X1_I0+2] // pack two int8 Vgpr to one half Vgpr
_v_lshl_or_b32 v72, v73, 0x8, v72                  // pack two int8 Vgpr to one half Vgpr
v_or_b32 v[vgprValuA_X1_I0+2], v[vgprValuA_X1_I0+2], v72 // pack two half Vgpr to one Vgpr
_v_lshl_or_b32 v[vgprValuB_X1_I0+1], v77, 0x8, v[vgprValuB_X1_I0+1] // pack two int8 Vgpr to one half Vgpr
_v_lshl_or_b32 v78, v79, 0x8, v78                  // pack two int8 Vgpr to one half Vgpr
v_or_b32 v[vgprValuB_X1_I0+1], v[vgprValuB_X1_I0+1], v78 // pack two half Vgpr to one Vgpr
v_mfma_i32_16x16x16i8 a[4+0:7+0], v[vgprValuA_X1_I0+1+0+0], v[vgprValuB_X1_I0+0+0+0], a[4:7]
/*  mfmaIndex:47  */
_ds_load_u8_d16_hi v57, v[vgprLocalReadAddrB] offset:42176 // L -> Reg lro=9216 swapByteOffset=32768 ti=32 vIdx=0 rIdx=2 oIdx=0 buffer=0 iui=0
_ds_load_u8_d16_hi v58, v[vgprLocalReadAddrB] offset:42272 // L -> Reg lro=9216 swapByteOffset=32768 ti=32 vIdx=0 rIdx=3 oIdx=0 buffer=0 iui=0
_ds_load_u8 v[vgprValuA_X0_I0+1], v[vgprLocalReadAddrA] offset:42016 // L -> Reg lro=9216 swapByteOffset=32768 ti=32 vIdx=1 rIdx=0 oIdx=0 buffer=0 iui=0
/* pack scheduling: packAIdx:9, packBIdx:3 */
_v_lshl_or_b32 v[vgprValuB_X1_I0+2], v80, 0x8, v[vgprValuB_X1_I0+2] // pack two int8 Vgpr to one half Vgpr
_v_lshl_or_b32 v81, v82, 0x8, v81                  // pack two int8 Vgpr to one half Vgpr
v_or_b32 v[vgprValuB_X1_I0+2], v[vgprValuB_X1_I0+2], v81 // pack two half Vgpr to one Vgpr
v_mfma_i32_16x16x16i8 a[8+0:11+0], v[vgprValuA_X1_I0+2+0+0], v[vgprValuB_X1_I0+0+0+0], a[8:11]
/*  mfmaIndex:48  */
_ds_load_u8 v50, v[vgprLocalReadAddrA] offset:42112 // L -> Reg lro=9216 swapByteOffset=32768 ti=32 vIdx=1 rIdx=1 oIdx=0 buffer=0 iui=0
_ds_load_u8_d16_hi v51, v[vgprLocalReadAddrA] offset:42208 // L -> Reg lro=9216 swapByteOffset=32768 ti=32 vIdx=1 rIdx=2 oIdx=0 buffer=0 iui=0
_ds_load_u8_d16_hi v52, v[vgprLocalReadAddrA] offset:42304 // L -> Reg lro=9216 swapByteOffset=32768 ti=32 vIdx=1 rIdx=3 oIdx=0 buffer=0 iui=0
v_mfma_i32_16x16x16i8 a[20+0:23+0], v[vgprValuA_X1_I0+2+0+0], v[vgprValuB_X1_I0+1+0+0], a[20:23]
/*  mfmaIndex:49  */
_ds_load_u8 v[vgprValuA_X0_I0+2], v[vgprLocalReadAddrA] offset:42048 // L -> Reg lro=9216 swapByteOffset=32768 ti=32 vIdx=2 rIdx=0 oIdx=0 buffer=0 iui=0
_ds_load_u8 v53, v[vgprLocalReadAddrA] offset:42144 // L -> Reg lro=9216 swapByteOffset=32768 ti=32 vIdx=2 rIdx=1 oIdx=0 buffer=0 iui=0
_ds_load_u8_d16_hi v54, v[vgprLocalReadAddrA] offset:42240 // L -> Reg lro=9216 swapByteOffset=32768 ti=32 vIdx=2 rIdx=2 oIdx=0 buffer=0 iui=0
v_mfma_i32_16x16x16i8 a[16+0:19+0], v[vgprValuA_X1_I0+1+0+0], v[vgprValuB_X1_I0+1+0+0], a[16:19]
/*  mfmaIndex:50  */
_ds_load_u8_d16_hi v55, v[vgprLocalReadAddrA] offset:42336 // L -> Reg lro=9216 swapByteOffset=32768 ti=32 vIdx=2 rIdx=3 oIdx=0 buffer=0 iui=0
_ds_load_u8 v[vgprValuB_X0_I0+1], v[vgprLocalReadAddrB] offset:42016 // L -> Reg lro=9216 swapByteOffset=32768 ti=32 vIdx=1 rIdx=0 oIdx=0 buffer=0 iui=0
_ds_load_u8 v59, v[vgprLocalReadAddrB] offset:42112 // L -> Reg lro=9216 swapByteOffset=32768 ti=32 vIdx=1 rIdx=1 oIdx=0 buffer=0 iui=0
v_mfma_i32_16x16x16i8 a[12+0:15+0], v[vgprValuA_X1_I0+0+0+0], v[vgprValuB_X1_I0+1+0+0], a[12:15]
/*  mfmaIndex:51  */
_ds_load_u8_d16_hi v60, v[vgprLocalReadAddrB] offset:42208 // L -> Reg lro=9216 swapByteOffset=32768 ti=32 vIdx=1 rIdx=2 oIdx=0 buffer=0 iui=0
_ds_load_u8_d16_hi v61, v[vgprLocalReadAddrB] offset:42304 // L -> Reg lro=9216 swapByteOffset=32768 ti=32 vIdx=1 rIdx=3 oIdx=0 buffer=0 iui=0
v_mfma_i32_16x16x16i8 a[24+0:27+0], v[vgprValuA_X1_I0+0+0+0], v[vgprValuB_X1_I0+2+0+0], a[24:27]
/*  mfmaIndex:52  */
_ds_load_u8 v[vgprValuB_X0_I0+2], v[vgprLocalReadAddrB] offset:42048 // L -> Reg lro=9216 swapByteOffset=32768 ti=32 vIdx=2 rIdx=0 oIdx=0 buffer=0 iui=0
_ds_load_u8 v62, v[vgprLocalReadAddrB] offset:42144 // L -> Reg lro=9216 swapByteOffset=32768 ti=32 vIdx=2 rIdx=1 oIdx=0 buffer=0 iui=0
v_mfma_i32_16x16x16i8 a[28+0:31+0], v[vgprValuA_X1_I0+1+0+0], v[vgprValuB_X1_I0+2+0+0], a[28:31]
/*  mfmaIndex:53  */
_ds_load_u8_d16_hi v63, v[vgprLocalReadAddrB] offset:42240 // L -> Reg lro=9216 swapByteOffset=32768 ti=32 vIdx=2 rIdx=2 oIdx=0 buffer=0 iui=0
_ds_load_u8_d16_hi v64, v[vgprLocalReadAddrB] offset:42336 // L -> Reg lro=9216 swapByteOffset=32768 ti=32 vIdx=2 rIdx=3 oIdx=0 buffer=0 iui=0
/* localReadsVacancy: latencyLeft 1 */
v_mfma_i32_16x16x16i8 a[32+0:35+0], v[vgprValuA_X1_I0+2+0+0], v[vgprValuB_X1_I0+2+0+0], a[32:35]
/* numPrefetchIter=0 */
/* dataAtIterA=4 numReadsIterA=6 skipReadsIterA=1 readsPerIterA=12 */
/* dataAtIterB=4 numReadsIterB=6 skipReadsIterB=1 readsPerIterB=12 */


/* iter 6 (reset local read pointers iteration)  (swap and reset local write pointers iteration)  (swap local read pointers iteration)  */

/*  grEndMfmaIndex:5, lwStartMfmaIndex:55, lwEndMfmaIndex:60  */
/*  numMfmaForLR:8, barrierMfmaIndex:63 */
/*  mfmaIndex:54  */
_ds_load_u8 v[vgprValuA_X1_I0+0], v[vgprLocalReadAddrA] offset:43520 // L -> Reg lro=10752 swapByteOffset=32768 ti=32 vIdx=0 rIdx=0 oIdx=0 buffer=1 iui=0
_ds_load_u8 v65, v[vgprLocalReadAddrA] offset:43616 // L -> Reg lro=10752 swapByteOffset=32768 ti=32 vIdx=0 rIdx=1 oIdx=0 buffer=1 iui=0
_ds_load_u8_d16_hi v66, v[vgprLocalReadAddrA] offset:43712 // L -> Reg lro=10752 swapByteOffset=32768 ti=32 vIdx=0 rIdx=2 oIdx=0 buffer=1 iui=0
s_waitcnt lgkmcnt(3)                               // lgkmcnt=0 vmcnt=-1wait for prior local read local write old=0, new=3 newLW=0 newLR=3
/* pack scheduling: packAIdx:3, packBIdx:3 */
_v_lshl_or_b32 v[vgprValuA_X0_I0+0], v47, 0x8, v[vgprValuA_X0_I0+0] // pack two int8 Vgpr to one half Vgpr
_v_lshl_or_b32 v48, v49, 0x8, v48                  // pack two int8 Vgpr to one half Vgpr
v_or_b32 v[vgprValuA_X0_I0+0], v[vgprValuA_X0_I0+0], v48 // pack two half Vgpr to one Vgpr
_v_lshl_or_b32 v[vgprValuB_X0_I0+0], v56, 0x8, v[vgprValuB_X0_I0+0] // pack two int8 Vgpr to one half Vgpr
_v_lshl_or_b32 v57, v58, 0x8, v57                  // pack two int8 Vgpr to one half Vgpr
v_or_b32 v[vgprValuB_X0_I0+0], v[vgprValuB_X0_I0+0], v57 // pack two half Vgpr to one Vgpr
_v_lshl_or_b32 v[vgprValuA_X0_I0+1], v50, 0x8, v[vgprValuA_X0_I0+1] // pack two int8 Vgpr to one half Vgpr
_v_lshl_or_b32 v51, v52, 0x8, v51                  // pack two int8 Vgpr to one half Vgpr
v_or_b32 v[vgprValuA_X0_I0+1], v[vgprValuA_X0_I0+1], v51 // pack two half Vgpr to one Vgpr
v_mfma_i32_16x16x16i8 a[0+0:3+0], v[vgprValuA_X0_I0+0+0+0], v[vgprValuB_X0_I0+0+0+0], a[0:3]
/*  mfmaIndex:55  */
_ds_load_u8_d16_hi v67, v[vgprLocalReadAddrA] offset:43808 // L -> Reg lro=10752 swapByteOffset=32768 ti=32 vIdx=0 rIdx=3 oIdx=0 buffer=1 iui=0
_ds_load_u8 v[vgprValuB_X1_I0+0], v[vgprLocalReadAddrB] offset:43520 // L -> Reg lro=10752 swapByteOffset=32768 ti=32 vIdx=0 rIdx=0 oIdx=0 buffer=1 iui=0
_ds_load_u8 v74, v[vgprLocalReadAddrB] offset:43616 // L -> Reg lro=10752 swapByteOffset=32768 ti=32 vIdx=0 rIdx=1 oIdx=0 buffer=1 iui=0
/* sched write - iter 6 writesPerItem=1 */
s_waitcnt vmcnt(0)                                 // lgkmcnt=-1 vmcnt=0wait for global read before writing to local
_ds_store_b128 v[vgprLocalWriteAddrA], v[vgprG2LA+0:vgprG2LA+0+3] offset:0 // lwoA_0_0_0_0 = (0*LSCA) + (0*LSPA)(*MT0I+PAD) = 0
/* pack scheduling: packAIdx:6, packBIdx:3 */
_v_lshl_or_b32 v[vgprValuA_X0_I0+2], v53, 0x8, v[vgprValuA_X0_I0+2] // pack two int8 Vgpr to one half Vgpr
_v_lshl_or_b32 v54, v55, 0x8, v54                  // pack two int8 Vgpr to one half Vgpr
v_or_b32 v[vgprValuA_X0_I0+2], v[vgprValuA_X0_I0+2], v54 // pack two half Vgpr to one Vgpr
_v_lshl_or_b32 v[vgprValuB_X0_I0+1], v59, 0x8, v[vgprValuB_X0_I0+1] // pack two int8 Vgpr to one half Vgpr
_v_lshl_or_b32 v60, v61, 0x8, v60                  // pack two int8 Vgpr to one half Vgpr
v_or_b32 v[vgprValuB_X0_I0+1], v[vgprValuB_X0_I0+1], v60 // pack two half Vgpr to one Vgpr
v_mfma_i32_16x16x16i8 a[4+0:7+0], v[vgprValuA_X0_I0+1+0+0], v[vgprValuB_X0_I0+0+0+0], a[4:7]
/*  mfmaIndex:56  */
_ds_load_u8_d16_hi v75, v[vgprLocalReadAddrB] offset:43712 // L -> Reg lro=10752 swapByteOffset=32768 ti=32 vIdx=0 rIdx=2 oIdx=0 buffer=1 iui=0
_ds_load_u8_d16_hi v76, v[vgprLocalReadAddrB] offset:43808 // L -> Reg lro=10752 swapByteOffset=32768 ti=32 vIdx=0 rIdx=3 oIdx=0 buffer=1 iui=0
_ds_load_u8 v[vgprValuA_X1_I0+1], v[vgprLocalReadAddrA] offset:43552 // L -> Reg lro=10752 swapByteOffset=32768 ti=32 vIdx=1 rIdx=0 oIdx=0 buffer=1 iui=0
/* sched write - iter 6 writesPerItem=1 */
s_waitcnt vmcnt(0)                                 // lgkmcnt=-1 vmcnt=0wait for global read before writing to local
_ds_store_b128 v[vgprLocalWriteAddrA], v[vgprG2LA+4:vgprG2LA+4+3] offset:32 // lwoA_1_0_0_0 = (1*LSCA) + (0*LSPA)(*MT0I+PAD) = 32
/* pack scheduling: packAIdx:9, packBIdx:3 */
_v_lshl_or_b32 v[vgprValuB_X0_I0+2], v62, 0x8, v[vgprValuB_X0_I0+2] // pack two int8 Vgpr to one half Vgpr
_v_lshl_or_b32 v63, v64, 0x8, v63                  // pack two int8 Vgpr to one half Vgpr
v_or_b32 v[vgprValuB_X0_I0+2], v[vgprValuB_X0_I0+2], v63 // pack two half Vgpr to one Vgpr
v_mfma_i32_16x16x16i8 a[8+0:11+0], v[vgprValuA_X0_I0+2+0+0], v[vgprValuB_X0_I0+0+0+0], a[8:11]
/*  mfmaIndex:57  */
_ds_load_u8 v68, v[vgprLocalReadAddrA] offset:43648 // L -> Reg lro=10752 swapByteOffset=32768 ti=32 vIdx=1 rIdx=1 oIdx=0 buffer=1 iui=0
_ds_load_u8_d16_hi v69, v[vgprLocalReadAddrA] offset:43744 // L -> Reg lro=10752 swapByteOffset=32768 ti=32 vIdx=1 rIdx=2 oIdx=0 buffer=1 iui=0
_ds_load_u8_d16_hi v70, v[vgprLocalReadAddrA] offset:43840 // L -> Reg lro=10752 swapByteOffset=32768 ti=32 vIdx=1 rIdx=3 oIdx=0 buffer=1 iui=0
/* sched write - iter 6 writesPerItem=1 */
s_waitcnt vmcnt(0)                                 // lgkmcnt=-1 vmcnt=0wait for global read before writing to local
_ds_store_b128 v[vgprLocalWriteAddrA], v[vgprG2LA+8:vgprG2LA+8+3] offset:64 // lwoA_2_0_0_0 = (2*LSCA) + (0*LSPA)(*MT0I+PAD) = 64
v_mfma_i32_16x16x16i8 a[20+0:23+0], v[vgprValuA_X0_I0+2+0+0], v[vgprValuB_X0_I0+1+0+0], a[20:23]
/*  mfmaIndex:58  */
_ds_load_u8 v[vgprValuA_X1_I0+2], v[vgprLocalReadAddrA] offset:43584 // L -> Reg lro=10752 swapByteOffset=32768 ti=32 vIdx=2 rIdx=0 oIdx=0 buffer=1 iui=0
_ds_load_u8 v71, v[vgprLocalReadAddrA] offset:43680 // L -> Reg lro=10752 swapByteOffset=32768 ti=32 vIdx=2 rIdx=1 oIdx=0 buffer=1 iui=0
_ds_load_u8_d16_hi v72, v[vgprLocalReadAddrA] offset:43776 // L -> Reg lro=10752 swapByteOffset=32768 ti=32 vIdx=2 rIdx=2 oIdx=0 buffer=1 iui=0
/* sched write - iter 6 writesPerItem=1 */
s_waitcnt vmcnt(0)                                 // lgkmcnt=-1 vmcnt=0wait for global read before writing to local
_ds_store_b128 v[vgprLocalWriteAddrB], v[vgprG2LB+0:vgprG2LB+0+3] offset:0 // lwoB_0_0_0_0 = (0*LSCB) + (0*LSPB)(*MT1J+PAD) = 0
v_mfma_i32_16x16x16i8 a[16+0:19+0], v[vgprValuA_X0_I0+1+0+0], v[vgprValuB_X0_I0+1+0+0], a[16:19]
/*  mfmaIndex:59  */
_ds_load_u8_d16_hi v73, v[vgprLocalReadAddrA] offset:43872 // L -> Reg lro=10752 swapByteOffset=32768 ti=32 vIdx=2 rIdx=3 oIdx=0 buffer=1 iui=0
_ds_load_u8 v[vgprValuB_X1_I0+1], v[vgprLocalReadAddrB] offset:43552 // L -> Reg lro=10752 swapByteOffset=32768 ti=32 vIdx=1 rIdx=0 oIdx=0 buffer=1 iui=0
_ds_load_u8 v77, v[vgprLocalReadAddrB] offset:43648 // L -> Reg lro=10752 swapByteOffset=32768 ti=32 vIdx=1 rIdx=1 oIdx=0 buffer=1 iui=0
/* sched write - iter 6 writesPerItem=1 */
s_waitcnt vmcnt(0)                                 // lgkmcnt=-1 vmcnt=0wait for global read before writing to local
_ds_store_b128 v[vgprLocalWriteAddrB], v[vgprG2LB+4:vgprG2LB+4+3] offset:32 // lwoB_1_0_0_0 = (1*LSCB) + (0*LSPB)(*MT1J+PAD) = 32
v_mfma_i32_16x16x16i8 a[12+0:15+0], v[vgprValuA_X0_I0+0+0+0], v[vgprValuB_X0_I0+1+0+0], a[12:15]
/*  mfmaIndex:60  */
_ds_load_u8_d16_hi v78, v[vgprLocalReadAddrB] offset:43744 // L -> Reg lro=10752 swapByteOffset=32768 ti=32 vIdx=1 rIdx=2 oIdx=0 buffer=1 iui=0
_ds_load_u8_d16_hi v79, v[vgprLocalReadAddrB] offset:43840 // L -> Reg lro=10752 swapByteOffset=32768 ti=32 vIdx=1 rIdx=3 oIdx=0 buffer=1 iui=0
/* sched write - iter 6 writesPerItem=1 */
s_waitcnt vmcnt(0)                                 // lgkmcnt=-1 vmcnt=0wait for global read before writing to local
_ds_store_b128 v[vgprLocalWriteAddrB], v[vgprG2LB+8:vgprG2LB+8+3] offset:64 // lwoB_2_0_0_0 = (2*LSCB) + (0*LSPB)(*MT1J+PAD) = 64

/* local write swap offsets a */

/* (EPS=1) local write swap internal offset -> 32768 */

/* local write swap offsets b */

/* (EPS=1) local write swap internal offset -> 32768 */
v_mfma_i32_16x16x16i8 a[24+0:27+0], v[vgprValuA_X0_I0+0+0+0], v[vgprValuB_X0_I0+2+0+0], a[24:27]
/*  mfmaIndex:61  */
_ds_load_u8 v[vgprValuB_X1_I0+2], v[vgprLocalReadAddrB] offset:43584 // L -> Reg lro=10752 swapByteOffset=32768 ti=32 vIdx=2 rIdx=0 oIdx=0 buffer=1 iui=0
_ds_load_u8 v80, v[vgprLocalReadAddrB] offset:43680 // L -> Reg lro=10752 swapByteOffset=32768 ti=32 vIdx=2 rIdx=1 oIdx=0 buffer=1 iui=0
v_mfma_i32_16x16x16i8 a[28+0:31+0], v[vgprValuA_X0_I0+1+0+0], v[vgprValuB_X0_I0+2+0+0], a[28:31]
/*  mfmaIndex:62  */
_ds_load_u8_d16_hi v81, v[vgprLocalReadAddrB] offset:43776 // L -> Reg lro=10752 swapByteOffset=32768 ti=32 vIdx=2 rIdx=2 oIdx=0 buffer=1 iui=0
_ds_load_u8_d16_hi v82, v[vgprLocalReadAddrB] offset:43872 // L -> Reg lro=10752 swapByteOffset=32768 ti=32 vIdx=2 rIdx=3 oIdx=0 buffer=1 iui=0
/* localReadsVacancy: latencyLeft 1 */

/* local read swap offsets a */

/* local read swap internal offset -> 0 */

/* local read swap offsets b */

/* local read swap internal offset -> 0 */

/* local read init pointers a */

/* localReadInitPointers */

/* local read init pointers b */

/* localReadInitPointers */
v_mfma_i32_16x16x16i8 a[32+0:35+0], v[vgprValuA_X0_I0+2+0+0], v[vgprValuB_X0_I0+2+0+0], a[32:35]
/* numPrefetchIter=0 */
/* dataAtIterA=5 numReadsIterA=7 skipReadsIterA=1 readsPerIterA=12 */
/* dataAtIterB=5 numReadsIterB=7 skipReadsIterB=1 readsPerIterB=12 */


/* iter 7 */

/*  grEndMfmaIndex:5, lwStartMfmaIndex:55, lwEndMfmaIndex:60  */
/*  numMfmaForLR:8, barrierMfmaIndex:63 */
/*  mfmaIndex:63  */
s_waitcnt lgkmcnt(0)                               // lgkmcnt=0 vmcnt=-13wait for local write
s_waitcnt lgkmcnt(0) & vmcnt(0)                    // force waitcnt0
s_barrier //
s_waitcnt lgkmcnt(0)                               // lgkmcnt=0 vmcnt=-1wait for prior local read local write old=0, new=0 newLW=0 newLR=0
/* pack scheduling: packAIdx:3, packBIdx:3 */
_v_lshl_or_b32 v[vgprValuA_X1_I0+0], v65, 0x8, v[vgprValuA_X1_I0+0] // pack two int8 Vgpr to one half Vgpr
_v_lshl_or_b32 v66, v67, 0x8, v66                  // pack two int8 Vgpr to one half Vgpr
v_or_b32 v[vgprValuA_X1_I0+0], v[vgprValuA_X1_I0+0], v66 // pack two half Vgpr to one Vgpr
_v_lshl_or_b32 v[vgprValuB_X1_I0+0], v74, 0x8, v[vgprValuB_X1_I0+0] // pack two int8 Vgpr to one half Vgpr
_v_lshl_or_b32 v75, v76, 0x8, v75                  // pack two int8 Vgpr to one half Vgpr
v_or_b32 v[vgprValuB_X1_I0+0], v[vgprValuB_X1_I0+0], v75 // pack two half Vgpr to one Vgpr
_v_lshl_or_b32 v[vgprValuA_X1_I0+1], v68, 0x8, v[vgprValuA_X1_I0+1] // pack two int8 Vgpr to one half Vgpr
_v_lshl_or_b32 v69, v70, 0x8, v69                  // pack two int8 Vgpr to one half Vgpr
v_or_b32 v[vgprValuA_X1_I0+1], v[vgprValuA_X1_I0+1], v69 // pack two half Vgpr to one Vgpr
v_mfma_i32_16x16x16i8 a[0+0:3+0], v[vgprValuA_X1_I0+0+0+0], v[vgprValuB_X1_I0+0+0+0], a[0:3]
/*  mfmaIndex:64  */
_ds_load_u8 v[vgprValuA_X0_I0+0], v[vgprLocalReadAddrA] offset:0 // L -> Reg lro=0 swapByteOffset=0 ti=32 vIdx=0 rIdx=0 oIdx=0 buffer=0 iui=0
_ds_load_u8 v47, v[vgprLocalReadAddrA] offset:96   // L -> Reg lro=0 swapByteOffset=0 ti=32 vIdx=0 rIdx=1 oIdx=0 buffer=0 iui=0
_ds_load_u8_d16_hi v48, v[vgprLocalReadAddrA] offset:192 // L -> Reg lro=0 swapByteOffset=0 ti=32 vIdx=0 rIdx=2 oIdx=0 buffer=0 iui=0
/* pack scheduling: packAIdx:6, packBIdx:3 */
_v_lshl_or_b32 v[vgprValuA_X1_I0+2], v71, 0x8, v[vgprValuA_X1_I0+2] // pack two int8 Vgpr to one half Vgpr
_v_lshl_or_b32 v72, v73, 0x8, v72                  // pack two int8 Vgpr to one half Vgpr
v_or_b32 v[vgprValuA_X1_I0+2], v[vgprValuA_X1_I0+2], v72 // pack two half Vgpr to one Vgpr
_v_lshl_or_b32 v[vgprValuB_X1_I0+1], v77, 0x8, v[vgprValuB_X1_I0+1] // pack two int8 Vgpr to one half Vgpr
_v_lshl_or_b32 v78, v79, 0x8, v78                  // pack two int8 Vgpr to one half Vgpr
v_or_b32 v[vgprValuB_X1_I0+1], v[vgprValuB_X1_I0+1], v78 // pack two half Vgpr to one Vgpr
v_mfma_i32_16x16x16i8 a[4+0:7+0], v[vgprValuA_X1_I0+1+0+0], v[vgprValuB_X1_I0+0+0+0], a[4:7]
/*  mfmaIndex:65  */
_ds_load_u8_d16_hi v49, v[vgprLocalReadAddrA] offset:288 // L -> Reg lro=0 swapByteOffset=0 ti=32 vIdx=0 rIdx=3 oIdx=0 buffer=0 iui=0
_ds_load_u8 v[vgprValuB_X0_I0+0], v[vgprLocalReadAddrB] offset:0 // L -> Reg lro=0 swapByteOffset=0 ti=32 vIdx=0 rIdx=0 oIdx=0 buffer=0 iui=0
_ds_load_u8 v56, v[vgprLocalReadAddrB] offset:96   // L -> Reg lro=0 swapByteOffset=0 ti=32 vIdx=0 rIdx=1 oIdx=0 buffer=0 iui=0
/* pack scheduling: packAIdx:9, packBIdx:3 */
_v_lshl_or_b32 v[vgprValuB_X1_I0+2], v80, 0x8, v[vgprValuB_X1_I0+2] // pack two int8 Vgpr to one half Vgpr
_v_lshl_or_b32 v81, v82, 0x8, v81                  // pack two int8 Vgpr to one half Vgpr
v_or_b32 v[vgprValuB_X1_I0+2], v[vgprValuB_X1_I0+2], v81 // pack two half Vgpr to one Vgpr
v_mfma_i32_16x16x16i8 a[8+0:11+0], v[vgprValuA_X1_I0+2+0+0], v[vgprValuB_X1_I0+0+0+0], a[8:11]
/*  mfmaIndex:66  */
_ds_load_u8_d16_hi v57, v[vgprLocalReadAddrB] offset:192 // L -> Reg lro=0 swapByteOffset=0 ti=32 vIdx=0 rIdx=2 oIdx=0 buffer=0 iui=0
_ds_load_u8_d16_hi v58, v[vgprLocalReadAddrB] offset:288 // L -> Reg lro=0 swapByteOffset=0 ti=32 vIdx=0 rIdx=3 oIdx=0 buffer=0 iui=0
_ds_load_u8 v[vgprValuA_X0_I0+1], v[vgprLocalReadAddrA] offset:32 // L -> Reg lro=0 swapByteOffset=0 ti=32 vIdx=1 rIdx=0 oIdx=0 buffer=0 iui=0
v_mfma_i32_16x16x16i8 a[20+0:23+0], v[vgprValuA_X1_I0+2+0+0], v[vgprValuB_X1_I0+1+0+0], a[20:23]
/*  mfmaIndex:67  */
_ds_load_u8 v50, v[vgprLocalReadAddrA] offset:128  // L -> Reg lro=0 swapByteOffset=0 ti=32 vIdx=1 rIdx=1 oIdx=0 buffer=0 iui=0
_ds_load_u8_d16_hi v51, v[vgprLocalReadAddrA] offset:224 // L -> Reg lro=0 swapByteOffset=0 ti=32 vIdx=1 rIdx=2 oIdx=0 buffer=0 iui=0
_ds_load_u8_d16_hi v52, v[vgprLocalReadAddrA] offset:320 // L -> Reg lro=0 swapByteOffset=0 ti=32 vIdx=1 rIdx=3 oIdx=0 buffer=0 iui=0
v_mfma_i32_16x16x16i8 a[16+0:19+0], v[vgprValuA_X1_I0+1+0+0], v[vgprValuB_X1_I0+1+0+0], a[16:19]
/*  mfmaIndex:68  */
_ds_load_u8 v[vgprValuA_X0_I0+2], v[vgprLocalReadAddrA] offset:64 // L -> Reg lro=0 swapByteOffset=0 ti=32 vIdx=2 rIdx=0 oIdx=0 buffer=0 iui=0
_ds_load_u8 v53, v[vgprLocalReadAddrA] offset:160  // L -> Reg lro=0 swapByteOffset=0 ti=32 vIdx=2 rIdx=1 oIdx=0 buffer=0 iui=0
_ds_load_u8_d16_hi v54, v[vgprLocalReadAddrA] offset:256 // L -> Reg lro=0 swapByteOffset=0 ti=32 vIdx=2 rIdx=2 oIdx=0 buffer=0 iui=0
v_mfma_i32_16x16x16i8 a[12+0:15+0], v[vgprValuA_X1_I0+0+0+0], v[vgprValuB_X1_I0+1+0+0], a[12:15]
/*  mfmaIndex:69  */
_ds_load_u8_d16_hi v55, v[vgprLocalReadAddrA] offset:352 // L -> Reg lro=0 swapByteOffset=0 ti=32 vIdx=2 rIdx=3 oIdx=0 buffer=0 iui=0
_ds_load_u8 v[vgprValuB_X0_I0+1], v[vgprLocalReadAddrB] offset:32 // L -> Reg lro=0 swapByteOffset=0 ti=32 vIdx=1 rIdx=0 oIdx=0 buffer=0 iui=0
_ds_load_u8 v59, v[vgprLocalReadAddrB] offset:128  // L -> Reg lro=0 swapByteOffset=0 ti=32 vIdx=1 rIdx=1 oIdx=0 buffer=0 iui=0
v_mfma_i32_16x16x16i8 a[24+0:27+0], v[vgprValuA_X1_I0+0+0+0], v[vgprValuB_X1_I0+2+0+0], a[24:27]
/*  mfmaIndex:70  */
_ds_load_u8_d16_hi v60, v[vgprLocalReadAddrB] offset:224 // L -> Reg lro=0 swapByteOffset=0 ti=32 vIdx=1 rIdx=2 oIdx=0 buffer=0 iui=0
_ds_load_u8_d16_hi v61, v[vgprLocalReadAddrB] offset:320 // L -> Reg lro=0 swapByteOffset=0 ti=32 vIdx=1 rIdx=3 oIdx=0 buffer=0 iui=0
_ds_load_u8 v[vgprValuB_X0_I0+2], v[vgprLocalReadAddrB] offset:64 // L -> Reg lro=0 swapByteOffset=0 ti=32 vIdx=2 rIdx=0 oIdx=0 buffer=0 iui=0
v_mfma_i32_16x16x16i8 a[28+0:31+0], v[vgprValuA_X1_I0+1+0+0], v[vgprValuB_X1_I0+2+0+0], a[28:31]
/*  mfmaIndex:71  */
_ds_load_u8 v62, v[vgprLocalReadAddrB] offset:160  // L -> Reg lro=0 swapByteOffset=0 ti=32 vIdx=2 rIdx=1 oIdx=0 buffer=0 iui=0
_ds_load_u8_d16_hi v63, v[vgprLocalReadAddrB] offset:256 // L -> Reg lro=0 swapByteOffset=0 ti=32 vIdx=2 rIdx=2 oIdx=0 buffer=0 iui=0
_ds_load_u8_d16_hi v64, v[vgprLocalReadAddrB] offset:352 // L -> Reg lro=0 swapByteOffset=0 ti=32 vIdx=2 rIdx=3 oIdx=0 buffer=0 iui=0
v_mfma_i32_16x16x16i8 a[32+0:35+0], v[vgprValuA_X1_I0+2+0+0], v[vgprValuB_X1_I0+2+0+0], a[32:35]
/* numPrefetchIter=1 */
/* dataAtIterA=6 numReadsIterA=7 skipReadsIterA=1 readsPerIterA=12 */
/* dataAtIterB=6 numReadsIterB=7 skipReadsIterB=1 readsPerIterB=12 */


/******************************************/
/* Unrolled Loop - End 2/2 (final)        */
/******************************************/


/* closeLoop loopL finalLoop=1 tailLoop=0 */
s_sub_u32 s[sgprLoopCounterL], s[sgprLoopCounterL], 1 // dec counterL
s_cmp_eq_i32 s[sgprLoopCounterL], 0x1              // counterL==1
s_cbranch_scc0 LoopBeginL_1                        // restart LoopL
LoopEndL_evenexit_4: // unroll loop eveniter exit
s_branch LoopEndL_2                                // exit unroll loopL (and skip second exit code)
LoopEndL_oddexit_3: // unroll loop odditer exit

/* Select high bank of LDS */
v_xor_b32 v[vgprLocalReadAddrA], 0x8000, v[vgprLocalReadAddrA] // swap Red Blk
v_xor_b32 v[vgprLocalReadAddrB], 0x8000, v[vgprLocalReadAddrB] // swap Red Blk
LoopEndL_2:


/* Before NLL: Check VGPR.checkin for INT8 LW */


/******************************************/
/* Opt. NoLoadLoop Without PAP - Begin                                      */
/******************************************/

s_cmpk_eq_u32 s[sgprBeta], 0x0                     // Beta == 0
s_cbranch_scc0 OptNLL_End_15                       // Branch if Beta is not zero

s_cmp_eq_u32 s[sgprAlpha], 1                       // Alpha == 1.0 ?
s_cbranch_scc0 OptNLL_End_15                       // branch if alpha != 1

s_mov_b32 s35, 0x0                                 // STATIC_DIV: divisior=96
s_mul_i32 s34, 0x555, s[sgprSizeI]                 // tmp1 = dividend * magic hi
s_lshl_b64 s[34:35], s[34:35], 0x10                // left shift 16 bits
s_mul_i32 s33, s[sgprSizeI], 0x5556                // tmp0 = dividend * magic lo
s_add_u32 s34, s33, s34                            // add lo
s_addc_u32 s35, s35, 0x0                           // add hi
s_lshr_b64 s[34:35], s[34:35], 0x21                // tmp1 = (dividend * magic) << shift
s_mov_b32 s33, s34                                 // quotient
s_mul_i32 s34, s33, 0x60                           // quotient*divisor
s_sub_u32 s32, s[sgprSizeI], s34                   // rReg = dividend - quotient*divisor
s_add_u32 s33, -0x1, s[sgprNumWorkGroups0]         // 
s_cmp_ge_u32 s[sgprWorkGroup0], s33                // wg0 >= nwg0-1 ?
s_cselect_b32 s32, s32, 0                          // set rMT0
s_cmpk_gt_u32 s32, 0x0                             // rMT0 > 0
s_cbranch_scc1 OptNLL_End_15                       // jump if edges required
s_mov_b32 s35, 0x0                                 // STATIC_DIV: divisior=96
s_mul_i32 s34, 0x555, s[sgprSizeJ]                 // tmp1 = dividend * magic hi
s_lshl_b64 s[34:35], s[34:35], 0x10                // left shift 16 bits
s_mul_i32 s33, s[sgprSizeJ], 0x5556                // tmp0 = dividend * magic lo
s_add_u32 s34, s33, s34                            // add lo
s_addc_u32 s35, s35, 0x0                           // add hi
s_lshr_b64 s[34:35], s[34:35], 0x21                // tmp1 = (dividend * magic) << shift
s_mov_b32 s33, s34                                 // quotient
s_mul_i32 s34, s33, 0x60                           // quotient*divisor
s_sub_u32 s32, s[sgprSizeJ], s34                   // rReg = dividend - quotient*divisor
s_add_u32 s33, -0x1, s[sgprNumWorkGroups1]         // 
s_cmp_ge_u32 s[sgprWorkGroup1], s33                // wg1 >= nwg1-1
s_cselect_b32 s32, s32, 0                          // set rMT1
s_cmpk_gt_u32 s32, 0x0                             // rMT1 > 0
s_cbranch_scc1 OptNLL_End_15                       // jump if edges required

s_and_b32 s33, 127, s[sgprSizesSum+0]              // s33 = s[sgprSizesSum+0] % 128
s_cmp_eq_u32 s33, 0x0                              // numIterL == 0
s_cbranch_scc0 OptNLL_End_15                       // skip if tail loop required


	;; [unrolled: 1-line block ×3, first 2 shown]
/* iter 0 (last unrolled loop) */

/*  grEndMfmaIndex:0, lwStartMfmaIndex:60, lwEndMfmaIndex:60  */
/*  numMfmaForLR:8, barrierMfmaIndex:63 */
/*  mfmaIndex:0  */
s_waitcnt lgkmcnt(0)                               // lgkmcnt=0 vmcnt=-1wait for prior local read local write old=0, new=0 newLW=0 newLR=0
/* pack scheduling: packAIdx:3, packBIdx:3 */
_v_lshl_or_b32 v[vgprValuA_X0_I0+0], v47, 0x8, v[vgprValuA_X0_I0+0] // pack two int8 Vgpr to one half Vgpr
_v_lshl_or_b32 v48, v49, 0x8, v48                  // pack two int8 Vgpr to one half Vgpr
v_or_b32 v[vgprValuA_X0_I0+0], v[vgprValuA_X0_I0+0], v48 // pack two half Vgpr to one Vgpr
_v_lshl_or_b32 v[vgprValuB_X0_I0+0], v56, 0x8, v[vgprValuB_X0_I0+0] // pack two int8 Vgpr to one half Vgpr
_v_lshl_or_b32 v57, v58, 0x8, v57                  // pack two int8 Vgpr to one half Vgpr
v_or_b32 v[vgprValuB_X0_I0+0], v[vgprValuB_X0_I0+0], v57 // pack two half Vgpr to one Vgpr
_v_lshl_or_b32 v[vgprValuA_X0_I0+1], v50, 0x8, v[vgprValuA_X0_I0+1] // pack two int8 Vgpr to one half Vgpr
_v_lshl_or_b32 v51, v52, 0x8, v51                  // pack two int8 Vgpr to one half Vgpr
v_or_b32 v[vgprValuA_X0_I0+1], v[vgprValuA_X0_I0+1], v51 // pack two half Vgpr to one Vgpr
v_mfma_i32_16x16x16i8 a[0+0:3+0], v[vgprValuA_X0_I0+0+0+0], v[vgprValuB_X0_I0+0+0+0], a[0:3]
/*  mfmaIndex:1  */
_ds_load_u8 v[vgprValuA_X1_I0+0], v[vgprLocalReadAddrA] offset:1536 // L -> Reg lro=1536 swapByteOffset=0 ti=32 vIdx=0 rIdx=0 oIdx=0 buffer=1 iui=0
_ds_load_u8 v65, v[vgprLocalReadAddrA] offset:1632 // L -> Reg lro=1536 swapByteOffset=0 ti=32 vIdx=0 rIdx=1 oIdx=0 buffer=1 iui=0
_ds_load_u8_d16_hi v66, v[vgprLocalReadAddrA] offset:1728 // L -> Reg lro=1536 swapByteOffset=0 ti=32 vIdx=0 rIdx=2 oIdx=0 buffer=1 iui=0
/* pack scheduling: packAIdx:6, packBIdx:3 */
_v_lshl_or_b32 v[vgprValuA_X0_I0+2], v53, 0x8, v[vgprValuA_X0_I0+2] // pack two int8 Vgpr to one half Vgpr
_v_lshl_or_b32 v54, v55, 0x8, v54                  // pack two int8 Vgpr to one half Vgpr
v_or_b32 v[vgprValuA_X0_I0+2], v[vgprValuA_X0_I0+2], v54 // pack two half Vgpr to one Vgpr
_v_lshl_or_b32 v[vgprValuB_X0_I0+1], v59, 0x8, v[vgprValuB_X0_I0+1] // pack two int8 Vgpr to one half Vgpr
_v_lshl_or_b32 v60, v61, 0x8, v60                  // pack two int8 Vgpr to one half Vgpr
v_or_b32 v[vgprValuB_X0_I0+1], v[vgprValuB_X0_I0+1], v60 // pack two half Vgpr to one Vgpr
v_mfma_i32_16x16x16i8 a[4+0:7+0], v[vgprValuA_X0_I0+1+0+0], v[vgprValuB_X0_I0+0+0+0], a[4:7]
/*  mfmaIndex:2  */
_ds_load_u8_d16_hi v67, v[vgprLocalReadAddrA] offset:1824 // L -> Reg lro=1536 swapByteOffset=0 ti=32 vIdx=0 rIdx=3 oIdx=0 buffer=1 iui=0
_ds_load_u8 v[vgprValuB_X1_I0+0], v[vgprLocalReadAddrB] offset:1536 // L -> Reg lro=1536 swapByteOffset=0 ti=32 vIdx=0 rIdx=0 oIdx=0 buffer=1 iui=0
_ds_load_u8 v74, v[vgprLocalReadAddrB] offset:1632 // L -> Reg lro=1536 swapByteOffset=0 ti=32 vIdx=0 rIdx=1 oIdx=0 buffer=1 iui=0
/* pack scheduling: packAIdx:9, packBIdx:3 */
_v_lshl_or_b32 v[vgprValuB_X0_I0+2], v62, 0x8, v[vgprValuB_X0_I0+2] // pack two int8 Vgpr to one half Vgpr
_v_lshl_or_b32 v63, v64, 0x8, v63                  // pack two int8 Vgpr to one half Vgpr
v_or_b32 v[vgprValuB_X0_I0+2], v[vgprValuB_X0_I0+2], v63 // pack two half Vgpr to one Vgpr
v_mfma_i32_16x16x16i8 a[8+0:11+0], v[vgprValuA_X0_I0+2+0+0], v[vgprValuB_X0_I0+0+0+0], a[8:11]
/*  mfmaIndex:3  */
_ds_load_u8_d16_hi v75, v[vgprLocalReadAddrB] offset:1728 // L -> Reg lro=1536 swapByteOffset=0 ti=32 vIdx=0 rIdx=2 oIdx=0 buffer=1 iui=0
_ds_load_u8_d16_hi v76, v[vgprLocalReadAddrB] offset:1824 // L -> Reg lro=1536 swapByteOffset=0 ti=32 vIdx=0 rIdx=3 oIdx=0 buffer=1 iui=0
_ds_load_u8 v[vgprValuA_X1_I0+1], v[vgprLocalReadAddrA] offset:1568 // L -> Reg lro=1536 swapByteOffset=0 ti=32 vIdx=1 rIdx=0 oIdx=0 buffer=1 iui=0
v_mfma_i32_16x16x16i8 a[20+0:23+0], v[vgprValuA_X0_I0+2+0+0], v[vgprValuB_X0_I0+1+0+0], a[20:23]
/*  mfmaIndex:4  */
_ds_load_u8 v68, v[vgprLocalReadAddrA] offset:1664 // L -> Reg lro=1536 swapByteOffset=0 ti=32 vIdx=1 rIdx=1 oIdx=0 buffer=1 iui=0
_ds_load_u8_d16_hi v69, v[vgprLocalReadAddrA] offset:1760 // L -> Reg lro=1536 swapByteOffset=0 ti=32 vIdx=1 rIdx=2 oIdx=0 buffer=1 iui=0
_ds_load_u8_d16_hi v70, v[vgprLocalReadAddrA] offset:1856 // L -> Reg lro=1536 swapByteOffset=0 ti=32 vIdx=1 rIdx=3 oIdx=0 buffer=1 iui=0
v_mfma_i32_16x16x16i8 a[16+0:19+0], v[vgprValuA_X0_I0+1+0+0], v[vgprValuB_X0_I0+1+0+0], a[16:19]
/*  mfmaIndex:5  */
_ds_load_u8 v[vgprValuA_X1_I0+2], v[vgprLocalReadAddrA] offset:1600 // L -> Reg lro=1536 swapByteOffset=0 ti=32 vIdx=2 rIdx=0 oIdx=0 buffer=1 iui=0
_ds_load_u8 v71, v[vgprLocalReadAddrA] offset:1696 // L -> Reg lro=1536 swapByteOffset=0 ti=32 vIdx=2 rIdx=1 oIdx=0 buffer=1 iui=0
_ds_load_u8_d16_hi v72, v[vgprLocalReadAddrA] offset:1792 // L -> Reg lro=1536 swapByteOffset=0 ti=32 vIdx=2 rIdx=2 oIdx=0 buffer=1 iui=0
v_mfma_i32_16x16x16i8 a[12+0:15+0], v[vgprValuA_X0_I0+0+0+0], v[vgprValuB_X0_I0+1+0+0], a[12:15]
/*  mfmaIndex:6  */
_ds_load_u8_d16_hi v73, v[vgprLocalReadAddrA] offset:1888 // L -> Reg lro=1536 swapByteOffset=0 ti=32 vIdx=2 rIdx=3 oIdx=0 buffer=1 iui=0
_ds_load_u8 v[vgprValuB_X1_I0+1], v[vgprLocalReadAddrB] offset:1568 // L -> Reg lro=1536 swapByteOffset=0 ti=32 vIdx=1 rIdx=0 oIdx=0 buffer=1 iui=0
_ds_load_u8 v77, v[vgprLocalReadAddrB] offset:1664 // L -> Reg lro=1536 swapByteOffset=0 ti=32 vIdx=1 rIdx=1 oIdx=0 buffer=1 iui=0
v_mfma_i32_16x16x16i8 a[24+0:27+0], v[vgprValuA_X0_I0+0+0+0], v[vgprValuB_X0_I0+2+0+0], a[24:27]
/*  mfmaIndex:7  */
_ds_load_u8_d16_hi v78, v[vgprLocalReadAddrB] offset:1760 // L -> Reg lro=1536 swapByteOffset=0 ti=32 vIdx=1 rIdx=2 oIdx=0 buffer=1 iui=0
_ds_load_u8_d16_hi v79, v[vgprLocalReadAddrB] offset:1856 // L -> Reg lro=1536 swapByteOffset=0 ti=32 vIdx=1 rIdx=3 oIdx=0 buffer=1 iui=0
_ds_load_u8 v[vgprValuB_X1_I0+2], v[vgprLocalReadAddrB] offset:1600 // L -> Reg lro=1536 swapByteOffset=0 ti=32 vIdx=2 rIdx=0 oIdx=0 buffer=1 iui=0
v_mfma_i32_16x16x16i8 a[28+0:31+0], v[vgprValuA_X0_I0+1+0+0], v[vgprValuB_X0_I0+2+0+0], a[28:31]
/*  mfmaIndex:8  */
_ds_load_u8 v80, v[vgprLocalReadAddrB] offset:1696 // L -> Reg lro=1536 swapByteOffset=0 ti=32 vIdx=2 rIdx=1 oIdx=0 buffer=1 iui=0
_ds_load_u8_d16_hi v81, v[vgprLocalReadAddrB] offset:1792 // L -> Reg lro=1536 swapByteOffset=0 ti=32 vIdx=2 rIdx=2 oIdx=0 buffer=1 iui=0
_ds_load_u8_d16_hi v82, v[vgprLocalReadAddrB] offset:1888 // L -> Reg lro=1536 swapByteOffset=0 ti=32 vIdx=2 rIdx=3 oIdx=0 buffer=1 iui=0
v_mfma_i32_16x16x16i8 a[32+0:35+0], v[vgprValuA_X0_I0+2+0+0], v[vgprValuB_X0_I0+2+0+0], a[32:35]
/* numPrefetchIter=0 */
/* dataAtIterA=-1 numReadsIterA=1 skipReadsIterA=1 readsPerIterA=12 */
/* dataAtIterB=-1 numReadsIterB=1 skipReadsIterB=1 readsPerIterB=12 */


/* iter 1 (last unrolled loop) */

/*  grEndMfmaIndex:0, lwStartMfmaIndex:60, lwEndMfmaIndex:60  */
/*  numMfmaForLR:8, barrierMfmaIndex:63 */
/*  mfmaIndex:9  */
_ds_load_u8 v[vgprValuA_X0_I0+0], v[vgprLocalReadAddrA] offset:3072 // L -> Reg lro=3072 swapByteOffset=0 ti=32 vIdx=0 rIdx=0 oIdx=0 buffer=0 iui=0
_ds_load_u8 v47, v[vgprLocalReadAddrA] offset:3168 // L -> Reg lro=3072 swapByteOffset=0 ti=32 vIdx=0 rIdx=1 oIdx=0 buffer=0 iui=0
_ds_load_u8_d16_hi v48, v[vgprLocalReadAddrA] offset:3264 // L -> Reg lro=3072 swapByteOffset=0 ti=32 vIdx=0 rIdx=2 oIdx=0 buffer=0 iui=0
s_waitcnt lgkmcnt(3)                               // lgkmcnt=0 vmcnt=-1wait for prior local read local write old=0, new=3 newLW=0 newLR=3
/* pack scheduling: packAIdx:3, packBIdx:3 */
_v_lshl_or_b32 v[vgprValuA_X1_I0+0], v65, 0x8, v[vgprValuA_X1_I0+0] // pack two int8 Vgpr to one half Vgpr
_v_lshl_or_b32 v66, v67, 0x8, v66                  // pack two int8 Vgpr to one half Vgpr
v_or_b32 v[vgprValuA_X1_I0+0], v[vgprValuA_X1_I0+0], v66 // pack two half Vgpr to one Vgpr
_v_lshl_or_b32 v[vgprValuB_X1_I0+0], v74, 0x8, v[vgprValuB_X1_I0+0] // pack two int8 Vgpr to one half Vgpr
_v_lshl_or_b32 v75, v76, 0x8, v75                  // pack two int8 Vgpr to one half Vgpr
v_or_b32 v[vgprValuB_X1_I0+0], v[vgprValuB_X1_I0+0], v75 // pack two half Vgpr to one Vgpr
_v_lshl_or_b32 v[vgprValuA_X1_I0+1], v68, 0x8, v[vgprValuA_X1_I0+1] // pack two int8 Vgpr to one half Vgpr
_v_lshl_or_b32 v69, v70, 0x8, v69                  // pack two int8 Vgpr to one half Vgpr
v_or_b32 v[vgprValuA_X1_I0+1], v[vgprValuA_X1_I0+1], v69 // pack two half Vgpr to one Vgpr
v_mfma_i32_16x16x16i8 a[0+0:3+0], v[vgprValuA_X1_I0+0+0+0], v[vgprValuB_X1_I0+0+0+0], a[0:3]
/*  mfmaIndex:10  */
_ds_load_u8_d16_hi v49, v[vgprLocalReadAddrA] offset:3360 // L -> Reg lro=3072 swapByteOffset=0 ti=32 vIdx=0 rIdx=3 oIdx=0 buffer=0 iui=0
_ds_load_u8 v[vgprValuB_X0_I0+0], v[vgprLocalReadAddrB] offset:3072 // L -> Reg lro=3072 swapByteOffset=0 ti=32 vIdx=0 rIdx=0 oIdx=0 buffer=0 iui=0
_ds_load_u8 v56, v[vgprLocalReadAddrB] offset:3168 // L -> Reg lro=3072 swapByteOffset=0 ti=32 vIdx=0 rIdx=1 oIdx=0 buffer=0 iui=0
/* pack scheduling: packAIdx:6, packBIdx:3 */
_v_lshl_or_b32 v[vgprValuA_X1_I0+2], v71, 0x8, v[vgprValuA_X1_I0+2] // pack two int8 Vgpr to one half Vgpr
_v_lshl_or_b32 v72, v73, 0x8, v72                  // pack two int8 Vgpr to one half Vgpr
v_or_b32 v[vgprValuA_X1_I0+2], v[vgprValuA_X1_I0+2], v72 // pack two half Vgpr to one Vgpr
_v_lshl_or_b32 v[vgprValuB_X1_I0+1], v77, 0x8, v[vgprValuB_X1_I0+1] // pack two int8 Vgpr to one half Vgpr
_v_lshl_or_b32 v78, v79, 0x8, v78                  // pack two int8 Vgpr to one half Vgpr
v_or_b32 v[vgprValuB_X1_I0+1], v[vgprValuB_X1_I0+1], v78 // pack two half Vgpr to one Vgpr
v_mfma_i32_16x16x16i8 a[4+0:7+0], v[vgprValuA_X1_I0+1+0+0], v[vgprValuB_X1_I0+0+0+0], a[4:7]
/*  mfmaIndex:11  */
_ds_load_u8_d16_hi v57, v[vgprLocalReadAddrB] offset:3264 // L -> Reg lro=3072 swapByteOffset=0 ti=32 vIdx=0 rIdx=2 oIdx=0 buffer=0 iui=0
_ds_load_u8_d16_hi v58, v[vgprLocalReadAddrB] offset:3360 // L -> Reg lro=3072 swapByteOffset=0 ti=32 vIdx=0 rIdx=3 oIdx=0 buffer=0 iui=0
_ds_load_u8 v[vgprValuA_X0_I0+1], v[vgprLocalReadAddrA] offset:3104 // L -> Reg lro=3072 swapByteOffset=0 ti=32 vIdx=1 rIdx=0 oIdx=0 buffer=0 iui=0
/* pack scheduling: packAIdx:9, packBIdx:3 */
_v_lshl_or_b32 v[vgprValuB_X1_I0+2], v80, 0x8, v[vgprValuB_X1_I0+2] // pack two int8 Vgpr to one half Vgpr
_v_lshl_or_b32 v81, v82, 0x8, v81                  // pack two int8 Vgpr to one half Vgpr
v_or_b32 v[vgprValuB_X1_I0+2], v[vgprValuB_X1_I0+2], v81 // pack two half Vgpr to one Vgpr
v_mfma_i32_16x16x16i8 a[8+0:11+0], v[vgprValuA_X1_I0+2+0+0], v[vgprValuB_X1_I0+0+0+0], a[8:11]
/*  mfmaIndex:12  */
_ds_load_u8 v50, v[vgprLocalReadAddrA] offset:3200 // L -> Reg lro=3072 swapByteOffset=0 ti=32 vIdx=1 rIdx=1 oIdx=0 buffer=0 iui=0
_ds_load_u8_d16_hi v51, v[vgprLocalReadAddrA] offset:3296 // L -> Reg lro=3072 swapByteOffset=0 ti=32 vIdx=1 rIdx=2 oIdx=0 buffer=0 iui=0
_ds_load_u8_d16_hi v52, v[vgprLocalReadAddrA] offset:3392 // L -> Reg lro=3072 swapByteOffset=0 ti=32 vIdx=1 rIdx=3 oIdx=0 buffer=0 iui=0
v_mfma_i32_16x16x16i8 a[20+0:23+0], v[vgprValuA_X1_I0+2+0+0], v[vgprValuB_X1_I0+1+0+0], a[20:23]
/*  mfmaIndex:13  */
_ds_load_u8 v[vgprValuA_X0_I0+2], v[vgprLocalReadAddrA] offset:3136 // L -> Reg lro=3072 swapByteOffset=0 ti=32 vIdx=2 rIdx=0 oIdx=0 buffer=0 iui=0
_ds_load_u8 v53, v[vgprLocalReadAddrA] offset:3232 // L -> Reg lro=3072 swapByteOffset=0 ti=32 vIdx=2 rIdx=1 oIdx=0 buffer=0 iui=0
_ds_load_u8_d16_hi v54, v[vgprLocalReadAddrA] offset:3328 // L -> Reg lro=3072 swapByteOffset=0 ti=32 vIdx=2 rIdx=2 oIdx=0 buffer=0 iui=0
v_mfma_i32_16x16x16i8 a[16+0:19+0], v[vgprValuA_X1_I0+1+0+0], v[vgprValuB_X1_I0+1+0+0], a[16:19]
/*  mfmaIndex:14  */
_ds_load_u8_d16_hi v55, v[vgprLocalReadAddrA] offset:3424 // L -> Reg lro=3072 swapByteOffset=0 ti=32 vIdx=2 rIdx=3 oIdx=0 buffer=0 iui=0
_ds_load_u8 v[vgprValuB_X0_I0+1], v[vgprLocalReadAddrB] offset:3104 // L -> Reg lro=3072 swapByteOffset=0 ti=32 vIdx=1 rIdx=0 oIdx=0 buffer=0 iui=0
_ds_load_u8 v59, v[vgprLocalReadAddrB] offset:3200 // L -> Reg lro=3072 swapByteOffset=0 ti=32 vIdx=1 rIdx=1 oIdx=0 buffer=0 iui=0
v_mfma_i32_16x16x16i8 a[12+0:15+0], v[vgprValuA_X1_I0+0+0+0], v[vgprValuB_X1_I0+1+0+0], a[12:15]
/*  mfmaIndex:15  */
_ds_load_u8_d16_hi v60, v[vgprLocalReadAddrB] offset:3296 // L -> Reg lro=3072 swapByteOffset=0 ti=32 vIdx=1 rIdx=2 oIdx=0 buffer=0 iui=0
_ds_load_u8_d16_hi v61, v[vgprLocalReadAddrB] offset:3392 // L -> Reg lro=3072 swapByteOffset=0 ti=32 vIdx=1 rIdx=3 oIdx=0 buffer=0 iui=0
v_mfma_i32_16x16x16i8 a[24+0:27+0], v[vgprValuA_X1_I0+0+0+0], v[vgprValuB_X1_I0+2+0+0], a[24:27]
/*  mfmaIndex:16  */
_ds_load_u8 v[vgprValuB_X0_I0+2], v[vgprLocalReadAddrB] offset:3136 // L -> Reg lro=3072 swapByteOffset=0 ti=32 vIdx=2 rIdx=0 oIdx=0 buffer=0 iui=0
_ds_load_u8 v62, v[vgprLocalReadAddrB] offset:3232 // L -> Reg lro=3072 swapByteOffset=0 ti=32 vIdx=2 rIdx=1 oIdx=0 buffer=0 iui=0
v_mfma_i32_16x16x16i8 a[28+0:31+0], v[vgprValuA_X1_I0+1+0+0], v[vgprValuB_X1_I0+2+0+0], a[28:31]
/*  mfmaIndex:17  */
_ds_load_u8_d16_hi v63, v[vgprLocalReadAddrB] offset:3328 // L -> Reg lro=3072 swapByteOffset=0 ti=32 vIdx=2 rIdx=2 oIdx=0 buffer=0 iui=0
_ds_load_u8_d16_hi v64, v[vgprLocalReadAddrB] offset:3424 // L -> Reg lro=3072 swapByteOffset=0 ti=32 vIdx=2 rIdx=3 oIdx=0 buffer=0 iui=0
/* localReadsVacancy: latencyLeft 1 */
v_mfma_i32_16x16x16i8 a[32+0:35+0], v[vgprValuA_X1_I0+2+0+0], v[vgprValuB_X1_I0+2+0+0], a[32:35]
/* numPrefetchIter=0 */
/* dataAtIterA=0 numReadsIterA=2 skipReadsIterA=1 readsPerIterA=12 */
/* dataAtIterB=0 numReadsIterB=2 skipReadsIterB=1 readsPerIterB=12 */


/* iter 2 (last unrolled loop) */

/*  grEndMfmaIndex:0, lwStartMfmaIndex:60, lwEndMfmaIndex:60  */
/*  numMfmaForLR:8, barrierMfmaIndex:63 */
/*  mfmaIndex:18  */
_ds_load_u8 v[vgprValuA_X1_I0+0], v[vgprLocalReadAddrA] offset:4608 // L -> Reg lro=4608 swapByteOffset=0 ti=32 vIdx=0 rIdx=0 oIdx=0 buffer=1 iui=0
_ds_load_u8 v65, v[vgprLocalReadAddrA] offset:4704 // L -> Reg lro=4608 swapByteOffset=0 ti=32 vIdx=0 rIdx=1 oIdx=0 buffer=1 iui=0
_ds_load_u8_d16_hi v66, v[vgprLocalReadAddrA] offset:4800 // L -> Reg lro=4608 swapByteOffset=0 ti=32 vIdx=0 rIdx=2 oIdx=0 buffer=1 iui=0
s_waitcnt lgkmcnt(3)                               // lgkmcnt=0 vmcnt=-1wait for prior local read local write old=0, new=3 newLW=0 newLR=3
/* pack scheduling: packAIdx:3, packBIdx:3 */
_v_lshl_or_b32 v[vgprValuA_X0_I0+0], v47, 0x8, v[vgprValuA_X0_I0+0] // pack two int8 Vgpr to one half Vgpr
_v_lshl_or_b32 v48, v49, 0x8, v48                  // pack two int8 Vgpr to one half Vgpr
v_or_b32 v[vgprValuA_X0_I0+0], v[vgprValuA_X0_I0+0], v48 // pack two half Vgpr to one Vgpr
_v_lshl_or_b32 v[vgprValuB_X0_I0+0], v56, 0x8, v[vgprValuB_X0_I0+0] // pack two int8 Vgpr to one half Vgpr
_v_lshl_or_b32 v57, v58, 0x8, v57                  // pack two int8 Vgpr to one half Vgpr
v_or_b32 v[vgprValuB_X0_I0+0], v[vgprValuB_X0_I0+0], v57 // pack two half Vgpr to one Vgpr
_v_lshl_or_b32 v[vgprValuA_X0_I0+1], v50, 0x8, v[vgprValuA_X0_I0+1] // pack two int8 Vgpr to one half Vgpr
_v_lshl_or_b32 v51, v52, 0x8, v51                  // pack two int8 Vgpr to one half Vgpr
v_or_b32 v[vgprValuA_X0_I0+1], v[vgprValuA_X0_I0+1], v51 // pack two half Vgpr to one Vgpr
v_mfma_i32_16x16x16i8 a[0+0:3+0], v[vgprValuA_X0_I0+0+0+0], v[vgprValuB_X0_I0+0+0+0], a[0:3]
/*  mfmaIndex:19  */
_ds_load_u8_d16_hi v67, v[vgprLocalReadAddrA] offset:4896 // L -> Reg lro=4608 swapByteOffset=0 ti=32 vIdx=0 rIdx=3 oIdx=0 buffer=1 iui=0
_ds_load_u8 v[vgprValuB_X1_I0+0], v[vgprLocalReadAddrB] offset:4608 // L -> Reg lro=4608 swapByteOffset=0 ti=32 vIdx=0 rIdx=0 oIdx=0 buffer=1 iui=0
_ds_load_u8 v74, v[vgprLocalReadAddrB] offset:4704 // L -> Reg lro=4608 swapByteOffset=0 ti=32 vIdx=0 rIdx=1 oIdx=0 buffer=1 iui=0
/* pack scheduling: packAIdx:6, packBIdx:3 */
_v_lshl_or_b32 v[vgprValuA_X0_I0+2], v53, 0x8, v[vgprValuA_X0_I0+2] // pack two int8 Vgpr to one half Vgpr
_v_lshl_or_b32 v54, v55, 0x8, v54                  // pack two int8 Vgpr to one half Vgpr
v_or_b32 v[vgprValuA_X0_I0+2], v[vgprValuA_X0_I0+2], v54 // pack two half Vgpr to one Vgpr
_v_lshl_or_b32 v[vgprValuB_X0_I0+1], v59, 0x8, v[vgprValuB_X0_I0+1] // pack two int8 Vgpr to one half Vgpr
_v_lshl_or_b32 v60, v61, 0x8, v60                  // pack two int8 Vgpr to one half Vgpr
v_or_b32 v[vgprValuB_X0_I0+1], v[vgprValuB_X0_I0+1], v60 // pack two half Vgpr to one Vgpr
v_mfma_i32_16x16x16i8 a[4+0:7+0], v[vgprValuA_X0_I0+1+0+0], v[vgprValuB_X0_I0+0+0+0], a[4:7]
/*  mfmaIndex:20  */
_ds_load_u8_d16_hi v75, v[vgprLocalReadAddrB] offset:4800 // L -> Reg lro=4608 swapByteOffset=0 ti=32 vIdx=0 rIdx=2 oIdx=0 buffer=1 iui=0
_ds_load_u8_d16_hi v76, v[vgprLocalReadAddrB] offset:4896 // L -> Reg lro=4608 swapByteOffset=0 ti=32 vIdx=0 rIdx=3 oIdx=0 buffer=1 iui=0
_ds_load_u8 v[vgprValuA_X1_I0+1], v[vgprLocalReadAddrA] offset:4640 // L -> Reg lro=4608 swapByteOffset=0 ti=32 vIdx=1 rIdx=0 oIdx=0 buffer=1 iui=0
/* pack scheduling: packAIdx:9, packBIdx:3 */
_v_lshl_or_b32 v[vgprValuB_X0_I0+2], v62, 0x8, v[vgprValuB_X0_I0+2] // pack two int8 Vgpr to one half Vgpr
_v_lshl_or_b32 v63, v64, 0x8, v63                  // pack two int8 Vgpr to one half Vgpr
v_or_b32 v[vgprValuB_X0_I0+2], v[vgprValuB_X0_I0+2], v63 // pack two half Vgpr to one Vgpr
v_mfma_i32_16x16x16i8 a[8+0:11+0], v[vgprValuA_X0_I0+2+0+0], v[vgprValuB_X0_I0+0+0+0], a[8:11]
/*  mfmaIndex:21  */
_ds_load_u8 v68, v[vgprLocalReadAddrA] offset:4736 // L -> Reg lro=4608 swapByteOffset=0 ti=32 vIdx=1 rIdx=1 oIdx=0 buffer=1 iui=0
_ds_load_u8_d16_hi v69, v[vgprLocalReadAddrA] offset:4832 // L -> Reg lro=4608 swapByteOffset=0 ti=32 vIdx=1 rIdx=2 oIdx=0 buffer=1 iui=0
_ds_load_u8_d16_hi v70, v[vgprLocalReadAddrA] offset:4928 // L -> Reg lro=4608 swapByteOffset=0 ti=32 vIdx=1 rIdx=3 oIdx=0 buffer=1 iui=0
v_mfma_i32_16x16x16i8 a[20+0:23+0], v[vgprValuA_X0_I0+2+0+0], v[vgprValuB_X0_I0+1+0+0], a[20:23]
/*  mfmaIndex:22  */
_ds_load_u8 v[vgprValuA_X1_I0+2], v[vgprLocalReadAddrA] offset:4672 // L -> Reg lro=4608 swapByteOffset=0 ti=32 vIdx=2 rIdx=0 oIdx=0 buffer=1 iui=0
_ds_load_u8 v71, v[vgprLocalReadAddrA] offset:4768 // L -> Reg lro=4608 swapByteOffset=0 ti=32 vIdx=2 rIdx=1 oIdx=0 buffer=1 iui=0
_ds_load_u8_d16_hi v72, v[vgprLocalReadAddrA] offset:4864 // L -> Reg lro=4608 swapByteOffset=0 ti=32 vIdx=2 rIdx=2 oIdx=0 buffer=1 iui=0
v_mfma_i32_16x16x16i8 a[16+0:19+0], v[vgprValuA_X0_I0+1+0+0], v[vgprValuB_X0_I0+1+0+0], a[16:19]
/*  mfmaIndex:23  */
_ds_load_u8_d16_hi v73, v[vgprLocalReadAddrA] offset:4960 // L -> Reg lro=4608 swapByteOffset=0 ti=32 vIdx=2 rIdx=3 oIdx=0 buffer=1 iui=0
_ds_load_u8 v[vgprValuB_X1_I0+1], v[vgprLocalReadAddrB] offset:4640 // L -> Reg lro=4608 swapByteOffset=0 ti=32 vIdx=1 rIdx=0 oIdx=0 buffer=1 iui=0
_ds_load_u8 v77, v[vgprLocalReadAddrB] offset:4736 // L -> Reg lro=4608 swapByteOffset=0 ti=32 vIdx=1 rIdx=1 oIdx=0 buffer=1 iui=0
v_mfma_i32_16x16x16i8 a[12+0:15+0], v[vgprValuA_X0_I0+0+0+0], v[vgprValuB_X0_I0+1+0+0], a[12:15]
/*  mfmaIndex:24  */
_ds_load_u8_d16_hi v78, v[vgprLocalReadAddrB] offset:4832 // L -> Reg lro=4608 swapByteOffset=0 ti=32 vIdx=1 rIdx=2 oIdx=0 buffer=1 iui=0
_ds_load_u8_d16_hi v79, v[vgprLocalReadAddrB] offset:4928 // L -> Reg lro=4608 swapByteOffset=0 ti=32 vIdx=1 rIdx=3 oIdx=0 buffer=1 iui=0
v_mfma_i32_16x16x16i8 a[24+0:27+0], v[vgprValuA_X0_I0+0+0+0], v[vgprValuB_X0_I0+2+0+0], a[24:27]
/*  mfmaIndex:25  */
_ds_load_u8 v[vgprValuB_X1_I0+2], v[vgprLocalReadAddrB] offset:4672 // L -> Reg lro=4608 swapByteOffset=0 ti=32 vIdx=2 rIdx=0 oIdx=0 buffer=1 iui=0
_ds_load_u8 v80, v[vgprLocalReadAddrB] offset:4768 // L -> Reg lro=4608 swapByteOffset=0 ti=32 vIdx=2 rIdx=1 oIdx=0 buffer=1 iui=0
v_mfma_i32_16x16x16i8 a[28+0:31+0], v[vgprValuA_X0_I0+1+0+0], v[vgprValuB_X0_I0+2+0+0], a[28:31]
/*  mfmaIndex:26  */
_ds_load_u8_d16_hi v81, v[vgprLocalReadAddrB] offset:4864 // L -> Reg lro=4608 swapByteOffset=0 ti=32 vIdx=2 rIdx=2 oIdx=0 buffer=1 iui=0
_ds_load_u8_d16_hi v82, v[vgprLocalReadAddrB] offset:4960 // L -> Reg lro=4608 swapByteOffset=0 ti=32 vIdx=2 rIdx=3 oIdx=0 buffer=1 iui=0
/* localReadsVacancy: latencyLeft 1 */
v_mfma_i32_16x16x16i8 a[32+0:35+0], v[vgprValuA_X0_I0+2+0+0], v[vgprValuB_X0_I0+2+0+0], a[32:35]
/* numPrefetchIter=0 */
/* dataAtIterA=1 numReadsIterA=3 skipReadsIterA=1 readsPerIterA=12 */
/* dataAtIterB=1 numReadsIterB=3 skipReadsIterB=1 readsPerIterB=12 */


/* iter 3 (last unrolled loop) */

/*  grEndMfmaIndex:0, lwStartMfmaIndex:60, lwEndMfmaIndex:60  */
/*  numMfmaForLR:8, barrierMfmaIndex:63 */
/*  mfmaIndex:27  */
_ds_load_u8 v[vgprValuA_X0_I0+0], v[vgprLocalReadAddrA] offset:6144 // L -> Reg lro=6144 swapByteOffset=0 ti=32 vIdx=0 rIdx=0 oIdx=0 buffer=0 iui=0
_ds_load_u8 v47, v[vgprLocalReadAddrA] offset:6240 // L -> Reg lro=6144 swapByteOffset=0 ti=32 vIdx=0 rIdx=1 oIdx=0 buffer=0 iui=0
_ds_load_u8_d16_hi v48, v[vgprLocalReadAddrA] offset:6336 // L -> Reg lro=6144 swapByteOffset=0 ti=32 vIdx=0 rIdx=2 oIdx=0 buffer=0 iui=0
s_waitcnt lgkmcnt(3)                               // lgkmcnt=0 vmcnt=-1wait for prior local read local write old=0, new=3 newLW=0 newLR=3
/* pack scheduling: packAIdx:3, packBIdx:3 */
_v_lshl_or_b32 v[vgprValuA_X1_I0+0], v65, 0x8, v[vgprValuA_X1_I0+0] // pack two int8 Vgpr to one half Vgpr
_v_lshl_or_b32 v66, v67, 0x8, v66                  // pack two int8 Vgpr to one half Vgpr
v_or_b32 v[vgprValuA_X1_I0+0], v[vgprValuA_X1_I0+0], v66 // pack two half Vgpr to one Vgpr
_v_lshl_or_b32 v[vgprValuB_X1_I0+0], v74, 0x8, v[vgprValuB_X1_I0+0] // pack two int8 Vgpr to one half Vgpr
_v_lshl_or_b32 v75, v76, 0x8, v75                  // pack two int8 Vgpr to one half Vgpr
v_or_b32 v[vgprValuB_X1_I0+0], v[vgprValuB_X1_I0+0], v75 // pack two half Vgpr to one Vgpr
_v_lshl_or_b32 v[vgprValuA_X1_I0+1], v68, 0x8, v[vgprValuA_X1_I0+1] // pack two int8 Vgpr to one half Vgpr
_v_lshl_or_b32 v69, v70, 0x8, v69                  // pack two int8 Vgpr to one half Vgpr
v_or_b32 v[vgprValuA_X1_I0+1], v[vgprValuA_X1_I0+1], v69 // pack two half Vgpr to one Vgpr
v_mfma_i32_16x16x16i8 a[0+0:3+0], v[vgprValuA_X1_I0+0+0+0], v[vgprValuB_X1_I0+0+0+0], a[0:3]
/*  mfmaIndex:28  */
_ds_load_u8_d16_hi v49, v[vgprLocalReadAddrA] offset:6432 // L -> Reg lro=6144 swapByteOffset=0 ti=32 vIdx=0 rIdx=3 oIdx=0 buffer=0 iui=0
_ds_load_u8 v[vgprValuB_X0_I0+0], v[vgprLocalReadAddrB] offset:6144 // L -> Reg lro=6144 swapByteOffset=0 ti=32 vIdx=0 rIdx=0 oIdx=0 buffer=0 iui=0
_ds_load_u8 v56, v[vgprLocalReadAddrB] offset:6240 // L -> Reg lro=6144 swapByteOffset=0 ti=32 vIdx=0 rIdx=1 oIdx=0 buffer=0 iui=0
/* pack scheduling: packAIdx:6, packBIdx:3 */
_v_lshl_or_b32 v[vgprValuA_X1_I0+2], v71, 0x8, v[vgprValuA_X1_I0+2] // pack two int8 Vgpr to one half Vgpr
_v_lshl_or_b32 v72, v73, 0x8, v72                  // pack two int8 Vgpr to one half Vgpr
v_or_b32 v[vgprValuA_X1_I0+2], v[vgprValuA_X1_I0+2], v72 // pack two half Vgpr to one Vgpr
_v_lshl_or_b32 v[vgprValuB_X1_I0+1], v77, 0x8, v[vgprValuB_X1_I0+1] // pack two int8 Vgpr to one half Vgpr
_v_lshl_or_b32 v78, v79, 0x8, v78                  // pack two int8 Vgpr to one half Vgpr
v_or_b32 v[vgprValuB_X1_I0+1], v[vgprValuB_X1_I0+1], v78 // pack two half Vgpr to one Vgpr
v_mfma_i32_16x16x16i8 a[4+0:7+0], v[vgprValuA_X1_I0+1+0+0], v[vgprValuB_X1_I0+0+0+0], a[4:7]
/*  mfmaIndex:29  */
_ds_load_u8_d16_hi v57, v[vgprLocalReadAddrB] offset:6336 // L -> Reg lro=6144 swapByteOffset=0 ti=32 vIdx=0 rIdx=2 oIdx=0 buffer=0 iui=0
_ds_load_u8_d16_hi v58, v[vgprLocalReadAddrB] offset:6432 // L -> Reg lro=6144 swapByteOffset=0 ti=32 vIdx=0 rIdx=3 oIdx=0 buffer=0 iui=0
_ds_load_u8 v[vgprValuA_X0_I0+1], v[vgprLocalReadAddrA] offset:6176 // L -> Reg lro=6144 swapByteOffset=0 ti=32 vIdx=1 rIdx=0 oIdx=0 buffer=0 iui=0
/* pack scheduling: packAIdx:9, packBIdx:3 */
_v_lshl_or_b32 v[vgprValuB_X1_I0+2], v80, 0x8, v[vgprValuB_X1_I0+2] // pack two int8 Vgpr to one half Vgpr
_v_lshl_or_b32 v81, v82, 0x8, v81                  // pack two int8 Vgpr to one half Vgpr
v_or_b32 v[vgprValuB_X1_I0+2], v[vgprValuB_X1_I0+2], v81 // pack two half Vgpr to one Vgpr
v_mfma_i32_16x16x16i8 a[8+0:11+0], v[vgprValuA_X1_I0+2+0+0], v[vgprValuB_X1_I0+0+0+0], a[8:11]
/*  mfmaIndex:30  */
_ds_load_u8 v50, v[vgprLocalReadAddrA] offset:6272 // L -> Reg lro=6144 swapByteOffset=0 ti=32 vIdx=1 rIdx=1 oIdx=0 buffer=0 iui=0
_ds_load_u8_d16_hi v51, v[vgprLocalReadAddrA] offset:6368 // L -> Reg lro=6144 swapByteOffset=0 ti=32 vIdx=1 rIdx=2 oIdx=0 buffer=0 iui=0
_ds_load_u8_d16_hi v52, v[vgprLocalReadAddrA] offset:6464 // L -> Reg lro=6144 swapByteOffset=0 ti=32 vIdx=1 rIdx=3 oIdx=0 buffer=0 iui=0
v_mfma_i32_16x16x16i8 a[20+0:23+0], v[vgprValuA_X1_I0+2+0+0], v[vgprValuB_X1_I0+1+0+0], a[20:23]
/*  mfmaIndex:31  */
_ds_load_u8 v[vgprValuA_X0_I0+2], v[vgprLocalReadAddrA] offset:6208 // L -> Reg lro=6144 swapByteOffset=0 ti=32 vIdx=2 rIdx=0 oIdx=0 buffer=0 iui=0
_ds_load_u8 v53, v[vgprLocalReadAddrA] offset:6304 // L -> Reg lro=6144 swapByteOffset=0 ti=32 vIdx=2 rIdx=1 oIdx=0 buffer=0 iui=0
_ds_load_u8_d16_hi v54, v[vgprLocalReadAddrA] offset:6400 // L -> Reg lro=6144 swapByteOffset=0 ti=32 vIdx=2 rIdx=2 oIdx=0 buffer=0 iui=0
v_mfma_i32_16x16x16i8 a[16+0:19+0], v[vgprValuA_X1_I0+1+0+0], v[vgprValuB_X1_I0+1+0+0], a[16:19]
/*  mfmaIndex:32  */
_ds_load_u8_d16_hi v55, v[vgprLocalReadAddrA] offset:6496 // L -> Reg lro=6144 swapByteOffset=0 ti=32 vIdx=2 rIdx=3 oIdx=0 buffer=0 iui=0
_ds_load_u8 v[vgprValuB_X0_I0+1], v[vgprLocalReadAddrB] offset:6176 // L -> Reg lro=6144 swapByteOffset=0 ti=32 vIdx=1 rIdx=0 oIdx=0 buffer=0 iui=0
_ds_load_u8 v59, v[vgprLocalReadAddrB] offset:6272 // L -> Reg lro=6144 swapByteOffset=0 ti=32 vIdx=1 rIdx=1 oIdx=0 buffer=0 iui=0
v_mfma_i32_16x16x16i8 a[12+0:15+0], v[vgprValuA_X1_I0+0+0+0], v[vgprValuB_X1_I0+1+0+0], a[12:15]
/*  mfmaIndex:33  */
_ds_load_u8_d16_hi v60, v[vgprLocalReadAddrB] offset:6368 // L -> Reg lro=6144 swapByteOffset=0 ti=32 vIdx=1 rIdx=2 oIdx=0 buffer=0 iui=0
_ds_load_u8_d16_hi v61, v[vgprLocalReadAddrB] offset:6464 // L -> Reg lro=6144 swapByteOffset=0 ti=32 vIdx=1 rIdx=3 oIdx=0 buffer=0 iui=0
v_mfma_i32_16x16x16i8 a[24+0:27+0], v[vgprValuA_X1_I0+0+0+0], v[vgprValuB_X1_I0+2+0+0], a[24:27]
/*  mfmaIndex:34  */
_ds_load_u8 v[vgprValuB_X0_I0+2], v[vgprLocalReadAddrB] offset:6208 // L -> Reg lro=6144 swapByteOffset=0 ti=32 vIdx=2 rIdx=0 oIdx=0 buffer=0 iui=0
_ds_load_u8 v62, v[vgprLocalReadAddrB] offset:6304 // L -> Reg lro=6144 swapByteOffset=0 ti=32 vIdx=2 rIdx=1 oIdx=0 buffer=0 iui=0
v_mfma_i32_16x16x16i8 a[28+0:31+0], v[vgprValuA_X1_I0+1+0+0], v[vgprValuB_X1_I0+2+0+0], a[28:31]
/*  mfmaIndex:35  */
_ds_load_u8_d16_hi v63, v[vgprLocalReadAddrB] offset:6400 // L -> Reg lro=6144 swapByteOffset=0 ti=32 vIdx=2 rIdx=2 oIdx=0 buffer=0 iui=0
_ds_load_u8_d16_hi v64, v[vgprLocalReadAddrB] offset:6496 // L -> Reg lro=6144 swapByteOffset=0 ti=32 vIdx=2 rIdx=3 oIdx=0 buffer=0 iui=0
/* localReadsVacancy: latencyLeft 1 */
v_mfma_i32_16x16x16i8 a[32+0:35+0], v[vgprValuA_X1_I0+2+0+0], v[vgprValuB_X1_I0+2+0+0], a[32:35]
/* numPrefetchIter=0 */
/* dataAtIterA=2 numReadsIterA=4 skipReadsIterA=1 readsPerIterA=12 */
/* dataAtIterB=2 numReadsIterB=4 skipReadsIterB=1 readsPerIterB=12 */


/* iter 4 (last unrolled loop) */

/*  grEndMfmaIndex:0, lwStartMfmaIndex:60, lwEndMfmaIndex:60  */
/*  numMfmaForLR:8, barrierMfmaIndex:63 */
/*  mfmaIndex:36  */
_ds_load_u8 v[vgprValuA_X1_I0+0], v[vgprLocalReadAddrA] offset:7680 // L -> Reg lro=7680 swapByteOffset=0 ti=32 vIdx=0 rIdx=0 oIdx=0 buffer=1 iui=0
_ds_load_u8 v65, v[vgprLocalReadAddrA] offset:7776 // L -> Reg lro=7680 swapByteOffset=0 ti=32 vIdx=0 rIdx=1 oIdx=0 buffer=1 iui=0
_ds_load_u8_d16_hi v66, v[vgprLocalReadAddrA] offset:7872 // L -> Reg lro=7680 swapByteOffset=0 ti=32 vIdx=0 rIdx=2 oIdx=0 buffer=1 iui=0
s_waitcnt lgkmcnt(3)                               // lgkmcnt=0 vmcnt=-1wait for prior local read local write old=0, new=3 newLW=0 newLR=3
/* pack scheduling: packAIdx:3, packBIdx:3 */
_v_lshl_or_b32 v[vgprValuA_X0_I0+0], v47, 0x8, v[vgprValuA_X0_I0+0] // pack two int8 Vgpr to one half Vgpr
_v_lshl_or_b32 v48, v49, 0x8, v48                  // pack two int8 Vgpr to one half Vgpr
v_or_b32 v[vgprValuA_X0_I0+0], v[vgprValuA_X0_I0+0], v48 // pack two half Vgpr to one Vgpr
_v_lshl_or_b32 v[vgprValuB_X0_I0+0], v56, 0x8, v[vgprValuB_X0_I0+0] // pack two int8 Vgpr to one half Vgpr
_v_lshl_or_b32 v57, v58, 0x8, v57                  // pack two int8 Vgpr to one half Vgpr
v_or_b32 v[vgprValuB_X0_I0+0], v[vgprValuB_X0_I0+0], v57 // pack two half Vgpr to one Vgpr
_v_lshl_or_b32 v[vgprValuA_X0_I0+1], v50, 0x8, v[vgprValuA_X0_I0+1] // pack two int8 Vgpr to one half Vgpr
_v_lshl_or_b32 v51, v52, 0x8, v51                  // pack two int8 Vgpr to one half Vgpr
v_or_b32 v[vgprValuA_X0_I0+1], v[vgprValuA_X0_I0+1], v51 // pack two half Vgpr to one Vgpr
v_mfma_i32_16x16x16i8 a[0+0:3+0], v[vgprValuA_X0_I0+0+0+0], v[vgprValuB_X0_I0+0+0+0], a[0:3]
/*  mfmaIndex:37  */
_ds_load_u8_d16_hi v67, v[vgprLocalReadAddrA] offset:7968 // L -> Reg lro=7680 swapByteOffset=0 ti=32 vIdx=0 rIdx=3 oIdx=0 buffer=1 iui=0
_ds_load_u8 v[vgprValuB_X1_I0+0], v[vgprLocalReadAddrB] offset:7680 // L -> Reg lro=7680 swapByteOffset=0 ti=32 vIdx=0 rIdx=0 oIdx=0 buffer=1 iui=0
_ds_load_u8 v74, v[vgprLocalReadAddrB] offset:7776 // L -> Reg lro=7680 swapByteOffset=0 ti=32 vIdx=0 rIdx=1 oIdx=0 buffer=1 iui=0
/* pack scheduling: packAIdx:6, packBIdx:3 */
_v_lshl_or_b32 v[vgprValuA_X0_I0+2], v53, 0x8, v[vgprValuA_X0_I0+2] // pack two int8 Vgpr to one half Vgpr
_v_lshl_or_b32 v54, v55, 0x8, v54                  // pack two int8 Vgpr to one half Vgpr
v_or_b32 v[vgprValuA_X0_I0+2], v[vgprValuA_X0_I0+2], v54 // pack two half Vgpr to one Vgpr
_v_lshl_or_b32 v[vgprValuB_X0_I0+1], v59, 0x8, v[vgprValuB_X0_I0+1] // pack two int8 Vgpr to one half Vgpr
_v_lshl_or_b32 v60, v61, 0x8, v60                  // pack two int8 Vgpr to one half Vgpr
v_or_b32 v[vgprValuB_X0_I0+1], v[vgprValuB_X0_I0+1], v60 // pack two half Vgpr to one Vgpr
v_mfma_i32_16x16x16i8 a[4+0:7+0], v[vgprValuA_X0_I0+1+0+0], v[vgprValuB_X0_I0+0+0+0], a[4:7]
/*  mfmaIndex:38  */
_ds_load_u8_d16_hi v75, v[vgprLocalReadAddrB] offset:7872 // L -> Reg lro=7680 swapByteOffset=0 ti=32 vIdx=0 rIdx=2 oIdx=0 buffer=1 iui=0
_ds_load_u8_d16_hi v76, v[vgprLocalReadAddrB] offset:7968 // L -> Reg lro=7680 swapByteOffset=0 ti=32 vIdx=0 rIdx=3 oIdx=0 buffer=1 iui=0
_ds_load_u8 v[vgprValuA_X1_I0+1], v[vgprLocalReadAddrA] offset:7712 // L -> Reg lro=7680 swapByteOffset=0 ti=32 vIdx=1 rIdx=0 oIdx=0 buffer=1 iui=0
/* pack scheduling: packAIdx:9, packBIdx:3 */
_v_lshl_or_b32 v[vgprValuB_X0_I0+2], v62, 0x8, v[vgprValuB_X0_I0+2] // pack two int8 Vgpr to one half Vgpr
_v_lshl_or_b32 v63, v64, 0x8, v63                  // pack two int8 Vgpr to one half Vgpr
v_or_b32 v[vgprValuB_X0_I0+2], v[vgprValuB_X0_I0+2], v63 // pack two half Vgpr to one Vgpr
v_mfma_i32_16x16x16i8 a[8+0:11+0], v[vgprValuA_X0_I0+2+0+0], v[vgprValuB_X0_I0+0+0+0], a[8:11]
/*  mfmaIndex:39  */
_ds_load_u8 v68, v[vgprLocalReadAddrA] offset:7808 // L -> Reg lro=7680 swapByteOffset=0 ti=32 vIdx=1 rIdx=1 oIdx=0 buffer=1 iui=0
_ds_load_u8_d16_hi v69, v[vgprLocalReadAddrA] offset:7904 // L -> Reg lro=7680 swapByteOffset=0 ti=32 vIdx=1 rIdx=2 oIdx=0 buffer=1 iui=0
_ds_load_u8_d16_hi v70, v[vgprLocalReadAddrA] offset:8000 // L -> Reg lro=7680 swapByteOffset=0 ti=32 vIdx=1 rIdx=3 oIdx=0 buffer=1 iui=0
v_mfma_i32_16x16x16i8 a[20+0:23+0], v[vgprValuA_X0_I0+2+0+0], v[vgprValuB_X0_I0+1+0+0], a[20:23]
/*  mfmaIndex:40  */
_ds_load_u8 v[vgprValuA_X1_I0+2], v[vgprLocalReadAddrA] offset:7744 // L -> Reg lro=7680 swapByteOffset=0 ti=32 vIdx=2 rIdx=0 oIdx=0 buffer=1 iui=0
_ds_load_u8 v71, v[vgprLocalReadAddrA] offset:7840 // L -> Reg lro=7680 swapByteOffset=0 ti=32 vIdx=2 rIdx=1 oIdx=0 buffer=1 iui=0
_ds_load_u8_d16_hi v72, v[vgprLocalReadAddrA] offset:7936 // L -> Reg lro=7680 swapByteOffset=0 ti=32 vIdx=2 rIdx=2 oIdx=0 buffer=1 iui=0
v_mfma_i32_16x16x16i8 a[16+0:19+0], v[vgprValuA_X0_I0+1+0+0], v[vgprValuB_X0_I0+1+0+0], a[16:19]
/*  mfmaIndex:41  */
_ds_load_u8_d16_hi v73, v[vgprLocalReadAddrA] offset:8032 // L -> Reg lro=7680 swapByteOffset=0 ti=32 vIdx=2 rIdx=3 oIdx=0 buffer=1 iui=0
_ds_load_u8 v[vgprValuB_X1_I0+1], v[vgprLocalReadAddrB] offset:7712 // L -> Reg lro=7680 swapByteOffset=0 ti=32 vIdx=1 rIdx=0 oIdx=0 buffer=1 iui=0
_ds_load_u8 v77, v[vgprLocalReadAddrB] offset:7808 // L -> Reg lro=7680 swapByteOffset=0 ti=32 vIdx=1 rIdx=1 oIdx=0 buffer=1 iui=0
v_mfma_i32_16x16x16i8 a[12+0:15+0], v[vgprValuA_X0_I0+0+0+0], v[vgprValuB_X0_I0+1+0+0], a[12:15]
/*  mfmaIndex:42  */
_ds_load_u8_d16_hi v78, v[vgprLocalReadAddrB] offset:7904 // L -> Reg lro=7680 swapByteOffset=0 ti=32 vIdx=1 rIdx=2 oIdx=0 buffer=1 iui=0
_ds_load_u8_d16_hi v79, v[vgprLocalReadAddrB] offset:8000 // L -> Reg lro=7680 swapByteOffset=0 ti=32 vIdx=1 rIdx=3 oIdx=0 buffer=1 iui=0
v_mfma_i32_16x16x16i8 a[24+0:27+0], v[vgprValuA_X0_I0+0+0+0], v[vgprValuB_X0_I0+2+0+0], a[24:27]
/*  mfmaIndex:43  */
_ds_load_u8 v[vgprValuB_X1_I0+2], v[vgprLocalReadAddrB] offset:7744 // L -> Reg lro=7680 swapByteOffset=0 ti=32 vIdx=2 rIdx=0 oIdx=0 buffer=1 iui=0
_ds_load_u8 v80, v[vgprLocalReadAddrB] offset:7840 // L -> Reg lro=7680 swapByteOffset=0 ti=32 vIdx=2 rIdx=1 oIdx=0 buffer=1 iui=0
v_mfma_i32_16x16x16i8 a[28+0:31+0], v[vgprValuA_X0_I0+1+0+0], v[vgprValuB_X0_I0+2+0+0], a[28:31]
/*  mfmaIndex:44  */
_ds_load_u8_d16_hi v81, v[vgprLocalReadAddrB] offset:7936 // L -> Reg lro=7680 swapByteOffset=0 ti=32 vIdx=2 rIdx=2 oIdx=0 buffer=1 iui=0
_ds_load_u8_d16_hi v82, v[vgprLocalReadAddrB] offset:8032 // L -> Reg lro=7680 swapByteOffset=0 ti=32 vIdx=2 rIdx=3 oIdx=0 buffer=1 iui=0
/* localReadsVacancy: latencyLeft 1 */
v_mfma_i32_16x16x16i8 a[32+0:35+0], v[vgprValuA_X0_I0+2+0+0], v[vgprValuB_X0_I0+2+0+0], a[32:35]
/* numPrefetchIter=0 */
/* dataAtIterA=3 numReadsIterA=5 skipReadsIterA=1 readsPerIterA=12 */
/* dataAtIterB=3 numReadsIterB=5 skipReadsIterB=1 readsPerIterB=12 */


/* iter 5 (last unrolled loop) */

/*  grEndMfmaIndex:0, lwStartMfmaIndex:60, lwEndMfmaIndex:60  */
/*  numMfmaForLR:8, barrierMfmaIndex:63 */
/*  mfmaIndex:45  */
_ds_load_u8 v[vgprValuA_X0_I0+0], v[vgprLocalReadAddrA] offset:9216 // L -> Reg lro=9216 swapByteOffset=0 ti=32 vIdx=0 rIdx=0 oIdx=0 buffer=0 iui=0
_ds_load_u8 v47, v[vgprLocalReadAddrA] offset:9312 // L -> Reg lro=9216 swapByteOffset=0 ti=32 vIdx=0 rIdx=1 oIdx=0 buffer=0 iui=0
_ds_load_u8_d16_hi v48, v[vgprLocalReadAddrA] offset:9408 // L -> Reg lro=9216 swapByteOffset=0 ti=32 vIdx=0 rIdx=2 oIdx=0 buffer=0 iui=0
s_waitcnt lgkmcnt(3)                               // lgkmcnt=0 vmcnt=-1wait for prior local read local write old=0, new=3 newLW=0 newLR=3
/* pack scheduling: packAIdx:3, packBIdx:3 */
_v_lshl_or_b32 v[vgprValuA_X1_I0+0], v65, 0x8, v[vgprValuA_X1_I0+0] // pack two int8 Vgpr to one half Vgpr
_v_lshl_or_b32 v66, v67, 0x8, v66                  // pack two int8 Vgpr to one half Vgpr
v_or_b32 v[vgprValuA_X1_I0+0], v[vgprValuA_X1_I0+0], v66 // pack two half Vgpr to one Vgpr
_v_lshl_or_b32 v[vgprValuB_X1_I0+0], v74, 0x8, v[vgprValuB_X1_I0+0] // pack two int8 Vgpr to one half Vgpr
_v_lshl_or_b32 v75, v76, 0x8, v75                  // pack two int8 Vgpr to one half Vgpr
v_or_b32 v[vgprValuB_X1_I0+0], v[vgprValuB_X1_I0+0], v75 // pack two half Vgpr to one Vgpr
_v_lshl_or_b32 v[vgprValuA_X1_I0+1], v68, 0x8, v[vgprValuA_X1_I0+1] // pack two int8 Vgpr to one half Vgpr
_v_lshl_or_b32 v69, v70, 0x8, v69                  // pack two int8 Vgpr to one half Vgpr
v_or_b32 v[vgprValuA_X1_I0+1], v[vgprValuA_X1_I0+1], v69 // pack two half Vgpr to one Vgpr
v_mfma_i32_16x16x16i8 a[0+0:3+0], v[vgprValuA_X1_I0+0+0+0], v[vgprValuB_X1_I0+0+0+0], a[0:3]
/*  mfmaIndex:46  */
_ds_load_u8_d16_hi v49, v[vgprLocalReadAddrA] offset:9504 // L -> Reg lro=9216 swapByteOffset=0 ti=32 vIdx=0 rIdx=3 oIdx=0 buffer=0 iui=0
_ds_load_u8 v[vgprValuB_X0_I0+0], v[vgprLocalReadAddrB] offset:9216 // L -> Reg lro=9216 swapByteOffset=0 ti=32 vIdx=0 rIdx=0 oIdx=0 buffer=0 iui=0
_ds_load_u8 v56, v[vgprLocalReadAddrB] offset:9312 // L -> Reg lro=9216 swapByteOffset=0 ti=32 vIdx=0 rIdx=1 oIdx=0 buffer=0 iui=0
/* pack scheduling: packAIdx:6, packBIdx:3 */
_v_lshl_or_b32 v[vgprValuA_X1_I0+2], v71, 0x8, v[vgprValuA_X1_I0+2] // pack two int8 Vgpr to one half Vgpr
_v_lshl_or_b32 v72, v73, 0x8, v72                  // pack two int8 Vgpr to one half Vgpr
v_or_b32 v[vgprValuA_X1_I0+2], v[vgprValuA_X1_I0+2], v72 // pack two half Vgpr to one Vgpr
_v_lshl_or_b32 v[vgprValuB_X1_I0+1], v77, 0x8, v[vgprValuB_X1_I0+1] // pack two int8 Vgpr to one half Vgpr
_v_lshl_or_b32 v78, v79, 0x8, v78                  // pack two int8 Vgpr to one half Vgpr
v_or_b32 v[vgprValuB_X1_I0+1], v[vgprValuB_X1_I0+1], v78 // pack two half Vgpr to one Vgpr
v_mfma_i32_16x16x16i8 a[4+0:7+0], v[vgprValuA_X1_I0+1+0+0], v[vgprValuB_X1_I0+0+0+0], a[4:7]
/*  mfmaIndex:47  */
_ds_load_u8_d16_hi v57, v[vgprLocalReadAddrB] offset:9408 // L -> Reg lro=9216 swapByteOffset=0 ti=32 vIdx=0 rIdx=2 oIdx=0 buffer=0 iui=0
_ds_load_u8_d16_hi v58, v[vgprLocalReadAddrB] offset:9504 // L -> Reg lro=9216 swapByteOffset=0 ti=32 vIdx=0 rIdx=3 oIdx=0 buffer=0 iui=0
_ds_load_u8 v[vgprValuA_X0_I0+1], v[vgprLocalReadAddrA] offset:9248 // L -> Reg lro=9216 swapByteOffset=0 ti=32 vIdx=1 rIdx=0 oIdx=0 buffer=0 iui=0
/* pack scheduling: packAIdx:9, packBIdx:3 */
_v_lshl_or_b32 v[vgprValuB_X1_I0+2], v80, 0x8, v[vgprValuB_X1_I0+2] // pack two int8 Vgpr to one half Vgpr
_v_lshl_or_b32 v81, v82, 0x8, v81                  // pack two int8 Vgpr to one half Vgpr
v_or_b32 v[vgprValuB_X1_I0+2], v[vgprValuB_X1_I0+2], v81 // pack two half Vgpr to one Vgpr
v_mfma_i32_16x16x16i8 a[8+0:11+0], v[vgprValuA_X1_I0+2+0+0], v[vgprValuB_X1_I0+0+0+0], a[8:11]
/*  mfmaIndex:48  */
_ds_load_u8 v50, v[vgprLocalReadAddrA] offset:9344 // L -> Reg lro=9216 swapByteOffset=0 ti=32 vIdx=1 rIdx=1 oIdx=0 buffer=0 iui=0
_ds_load_u8_d16_hi v51, v[vgprLocalReadAddrA] offset:9440 // L -> Reg lro=9216 swapByteOffset=0 ti=32 vIdx=1 rIdx=2 oIdx=0 buffer=0 iui=0
_ds_load_u8_d16_hi v52, v[vgprLocalReadAddrA] offset:9536 // L -> Reg lro=9216 swapByteOffset=0 ti=32 vIdx=1 rIdx=3 oIdx=0 buffer=0 iui=0
v_mfma_i32_16x16x16i8 a[20+0:23+0], v[vgprValuA_X1_I0+2+0+0], v[vgprValuB_X1_I0+1+0+0], a[20:23]
/*  mfmaIndex:49  */
_ds_load_u8 v[vgprValuA_X0_I0+2], v[vgprLocalReadAddrA] offset:9280 // L -> Reg lro=9216 swapByteOffset=0 ti=32 vIdx=2 rIdx=0 oIdx=0 buffer=0 iui=0
_ds_load_u8 v53, v[vgprLocalReadAddrA] offset:9376 // L -> Reg lro=9216 swapByteOffset=0 ti=32 vIdx=2 rIdx=1 oIdx=0 buffer=0 iui=0
_ds_load_u8_d16_hi v54, v[vgprLocalReadAddrA] offset:9472 // L -> Reg lro=9216 swapByteOffset=0 ti=32 vIdx=2 rIdx=2 oIdx=0 buffer=0 iui=0
v_mfma_i32_16x16x16i8 a[16+0:19+0], v[vgprValuA_X1_I0+1+0+0], v[vgprValuB_X1_I0+1+0+0], a[16:19]
/*  mfmaIndex:50  */
_ds_load_u8_d16_hi v55, v[vgprLocalReadAddrA] offset:9568 // L -> Reg lro=9216 swapByteOffset=0 ti=32 vIdx=2 rIdx=3 oIdx=0 buffer=0 iui=0
_ds_load_u8 v[vgprValuB_X0_I0+1], v[vgprLocalReadAddrB] offset:9248 // L -> Reg lro=9216 swapByteOffset=0 ti=32 vIdx=1 rIdx=0 oIdx=0 buffer=0 iui=0
_ds_load_u8 v59, v[vgprLocalReadAddrB] offset:9344 // L -> Reg lro=9216 swapByteOffset=0 ti=32 vIdx=1 rIdx=1 oIdx=0 buffer=0 iui=0
v_mfma_i32_16x16x16i8 a[12+0:15+0], v[vgprValuA_X1_I0+0+0+0], v[vgprValuB_X1_I0+1+0+0], a[12:15]
/*  mfmaIndex:51  */
_ds_load_u8_d16_hi v60, v[vgprLocalReadAddrB] offset:9440 // L -> Reg lro=9216 swapByteOffset=0 ti=32 vIdx=1 rIdx=2 oIdx=0 buffer=0 iui=0
_ds_load_u8_d16_hi v61, v[vgprLocalReadAddrB] offset:9536 // L -> Reg lro=9216 swapByteOffset=0 ti=32 vIdx=1 rIdx=3 oIdx=0 buffer=0 iui=0
v_mfma_i32_16x16x16i8 a[24+0:27+0], v[vgprValuA_X1_I0+0+0+0], v[vgprValuB_X1_I0+2+0+0], a[24:27]
/*  mfmaIndex:52  */
_ds_load_u8 v[vgprValuB_X0_I0+2], v[vgprLocalReadAddrB] offset:9280 // L -> Reg lro=9216 swapByteOffset=0 ti=32 vIdx=2 rIdx=0 oIdx=0 buffer=0 iui=0
_ds_load_u8 v62, v[vgprLocalReadAddrB] offset:9376 // L -> Reg lro=9216 swapByteOffset=0 ti=32 vIdx=2 rIdx=1 oIdx=0 buffer=0 iui=0
v_mfma_i32_16x16x16i8 a[28+0:31+0], v[vgprValuA_X1_I0+1+0+0], v[vgprValuB_X1_I0+2+0+0], a[28:31]
/*  mfmaIndex:53  */
_ds_load_u8_d16_hi v63, v[vgprLocalReadAddrB] offset:9472 // L -> Reg lro=9216 swapByteOffset=0 ti=32 vIdx=2 rIdx=2 oIdx=0 buffer=0 iui=0
_ds_load_u8_d16_hi v64, v[vgprLocalReadAddrB] offset:9568 // L -> Reg lro=9216 swapByteOffset=0 ti=32 vIdx=2 rIdx=3 oIdx=0 buffer=0 iui=0
/* localReadsVacancy: latencyLeft 1 */
v_mfma_i32_16x16x16i8 a[32+0:35+0], v[vgprValuA_X1_I0+2+0+0], v[vgprValuB_X1_I0+2+0+0], a[32:35]
/* numPrefetchIter=0 */
/* dataAtIterA=4 numReadsIterA=6 skipReadsIterA=1 readsPerIterA=12 */
/* dataAtIterB=4 numReadsIterB=6 skipReadsIterB=1 readsPerIterB=12 */


/* iter 6 (last unrolled loop) */

/*  grEndMfmaIndex:0, lwStartMfmaIndex:60, lwEndMfmaIndex:60  */
/*  numMfmaForLR:8, barrierMfmaIndex:63 */
/*  mfmaIndex:54  */
_ds_load_u8 v[vgprValuA_X1_I0+0], v[vgprLocalReadAddrA] offset:10752 // L -> Reg lro=10752 swapByteOffset=0 ti=32 vIdx=0 rIdx=0 oIdx=0 buffer=1 iui=0
_ds_load_u8 v65, v[vgprLocalReadAddrA] offset:10848 // L -> Reg lro=10752 swapByteOffset=0 ti=32 vIdx=0 rIdx=1 oIdx=0 buffer=1 iui=0
_ds_load_u8_d16_hi v66, v[vgprLocalReadAddrA] offset:10944 // L -> Reg lro=10752 swapByteOffset=0 ti=32 vIdx=0 rIdx=2 oIdx=0 buffer=1 iui=0
s_waitcnt lgkmcnt(3)                               // lgkmcnt=0 vmcnt=-1wait for prior local read local write old=0, new=3 newLW=0 newLR=3
/* pack scheduling: packAIdx:3, packBIdx:3 */
_v_lshl_or_b32 v[vgprValuA_X0_I0+0], v47, 0x8, v[vgprValuA_X0_I0+0] // pack two int8 Vgpr to one half Vgpr
_v_lshl_or_b32 v48, v49, 0x8, v48                  // pack two int8 Vgpr to one half Vgpr
v_or_b32 v[vgprValuA_X0_I0+0], v[vgprValuA_X0_I0+0], v48 // pack two half Vgpr to one Vgpr
_v_lshl_or_b32 v[vgprValuB_X0_I0+0], v56, 0x8, v[vgprValuB_X0_I0+0] // pack two int8 Vgpr to one half Vgpr
_v_lshl_or_b32 v57, v58, 0x8, v57                  // pack two int8 Vgpr to one half Vgpr
v_or_b32 v[vgprValuB_X0_I0+0], v[vgprValuB_X0_I0+0], v57 // pack two half Vgpr to one Vgpr
_v_lshl_or_b32 v[vgprValuA_X0_I0+1], v50, 0x8, v[vgprValuA_X0_I0+1] // pack two int8 Vgpr to one half Vgpr
_v_lshl_or_b32 v51, v52, 0x8, v51                  // pack two int8 Vgpr to one half Vgpr
v_or_b32 v[vgprValuA_X0_I0+1], v[vgprValuA_X0_I0+1], v51 // pack two half Vgpr to one Vgpr
v_mfma_i32_16x16x16i8 a[0+0:3+0], v[vgprValuA_X0_I0+0+0+0], v[vgprValuB_X0_I0+0+0+0], a[0:3]
/*  mfmaIndex:55  */
_ds_load_u8_d16_hi v67, v[vgprLocalReadAddrA] offset:11040 // L -> Reg lro=10752 swapByteOffset=0 ti=32 vIdx=0 rIdx=3 oIdx=0 buffer=1 iui=0
_ds_load_u8 v[vgprValuB_X1_I0+0], v[vgprLocalReadAddrB] offset:10752 // L -> Reg lro=10752 swapByteOffset=0 ti=32 vIdx=0 rIdx=0 oIdx=0 buffer=1 iui=0
_ds_load_u8 v74, v[vgprLocalReadAddrB] offset:10848 // L -> Reg lro=10752 swapByteOffset=0 ti=32 vIdx=0 rIdx=1 oIdx=0 buffer=1 iui=0
/* pack scheduling: packAIdx:6, packBIdx:3 */
_v_lshl_or_b32 v[vgprValuA_X0_I0+2], v53, 0x8, v[vgprValuA_X0_I0+2] // pack two int8 Vgpr to one half Vgpr
_v_lshl_or_b32 v54, v55, 0x8, v54                  // pack two int8 Vgpr to one half Vgpr
v_or_b32 v[vgprValuA_X0_I0+2], v[vgprValuA_X0_I0+2], v54 // pack two half Vgpr to one Vgpr
_v_lshl_or_b32 v[vgprValuB_X0_I0+1], v59, 0x8, v[vgprValuB_X0_I0+1] // pack two int8 Vgpr to one half Vgpr
_v_lshl_or_b32 v60, v61, 0x8, v60                  // pack two int8 Vgpr to one half Vgpr
v_or_b32 v[vgprValuB_X0_I0+1], v[vgprValuB_X0_I0+1], v60 // pack two half Vgpr to one Vgpr
v_mfma_i32_16x16x16i8 a[4+0:7+0], v[vgprValuA_X0_I0+1+0+0], v[vgprValuB_X0_I0+0+0+0], a[4:7]
/*  mfmaIndex:56  */
_ds_load_u8_d16_hi v75, v[vgprLocalReadAddrB] offset:10944 // L -> Reg lro=10752 swapByteOffset=0 ti=32 vIdx=0 rIdx=2 oIdx=0 buffer=1 iui=0
_ds_load_u8_d16_hi v76, v[vgprLocalReadAddrB] offset:11040 // L -> Reg lro=10752 swapByteOffset=0 ti=32 vIdx=0 rIdx=3 oIdx=0 buffer=1 iui=0
_ds_load_u8 v[vgprValuA_X1_I0+1], v[vgprLocalReadAddrA] offset:10784 // L -> Reg lro=10752 swapByteOffset=0 ti=32 vIdx=1 rIdx=0 oIdx=0 buffer=1 iui=0
/* pack scheduling: packAIdx:9, packBIdx:3 */
_v_lshl_or_b32 v[vgprValuB_X0_I0+2], v62, 0x8, v[vgprValuB_X0_I0+2] // pack two int8 Vgpr to one half Vgpr
_v_lshl_or_b32 v63, v64, 0x8, v63                  // pack two int8 Vgpr to one half Vgpr
v_or_b32 v[vgprValuB_X0_I0+2], v[vgprValuB_X0_I0+2], v63 // pack two half Vgpr to one Vgpr
v_mfma_i32_16x16x16i8 a[8+0:11+0], v[vgprValuA_X0_I0+2+0+0], v[vgprValuB_X0_I0+0+0+0], a[8:11]
/*  mfmaIndex:57  */
_ds_load_u8 v68, v[vgprLocalReadAddrA] offset:10880 // L -> Reg lro=10752 swapByteOffset=0 ti=32 vIdx=1 rIdx=1 oIdx=0 buffer=1 iui=0
_ds_load_u8_d16_hi v69, v[vgprLocalReadAddrA] offset:10976 // L -> Reg lro=10752 swapByteOffset=0 ti=32 vIdx=1 rIdx=2 oIdx=0 buffer=1 iui=0
_ds_load_u8_d16_hi v70, v[vgprLocalReadAddrA] offset:11072 // L -> Reg lro=10752 swapByteOffset=0 ti=32 vIdx=1 rIdx=3 oIdx=0 buffer=1 iui=0
v_mfma_i32_16x16x16i8 a[20+0:23+0], v[vgprValuA_X0_I0+2+0+0], v[vgprValuB_X0_I0+1+0+0], a[20:23]
/*  mfmaIndex:58  */
_ds_load_u8 v[vgprValuA_X1_I0+2], v[vgprLocalReadAddrA] offset:10816 // L -> Reg lro=10752 swapByteOffset=0 ti=32 vIdx=2 rIdx=0 oIdx=0 buffer=1 iui=0
_ds_load_u8 v71, v[vgprLocalReadAddrA] offset:10912 // L -> Reg lro=10752 swapByteOffset=0 ti=32 vIdx=2 rIdx=1 oIdx=0 buffer=1 iui=0
_ds_load_u8_d16_hi v72, v[vgprLocalReadAddrA] offset:11008 // L -> Reg lro=10752 swapByteOffset=0 ti=32 vIdx=2 rIdx=2 oIdx=0 buffer=1 iui=0
v_mfma_i32_16x16x16i8 a[16+0:19+0], v[vgprValuA_X0_I0+1+0+0], v[vgprValuB_X0_I0+1+0+0], a[16:19]
/*  mfmaIndex:59  */
_ds_load_u8_d16_hi v73, v[vgprLocalReadAddrA] offset:11104 // L -> Reg lro=10752 swapByteOffset=0 ti=32 vIdx=2 rIdx=3 oIdx=0 buffer=1 iui=0
_ds_load_u8 v[vgprValuB_X1_I0+1], v[vgprLocalReadAddrB] offset:10784 // L -> Reg lro=10752 swapByteOffset=0 ti=32 vIdx=1 rIdx=0 oIdx=0 buffer=1 iui=0
_ds_load_u8 v77, v[vgprLocalReadAddrB] offset:10880 // L -> Reg lro=10752 swapByteOffset=0 ti=32 vIdx=1 rIdx=1 oIdx=0 buffer=1 iui=0
v_mfma_i32_16x16x16i8 a[12+0:15+0], v[vgprValuA_X0_I0+0+0+0], v[vgprValuB_X0_I0+1+0+0], a[12:15]
/*  mfmaIndex:60  */
_ds_load_u8_d16_hi v78, v[vgprLocalReadAddrB] offset:10976 // L -> Reg lro=10752 swapByteOffset=0 ti=32 vIdx=1 rIdx=2 oIdx=0 buffer=1 iui=0
_ds_load_u8_d16_hi v79, v[vgprLocalReadAddrB] offset:11072 // L -> Reg lro=10752 swapByteOffset=0 ti=32 vIdx=1 rIdx=3 oIdx=0 buffer=1 iui=0
v_mfma_i32_16x16x16i8 a[24+0:27+0], v[vgprValuA_X0_I0+0+0+0], v[vgprValuB_X0_I0+2+0+0], a[24:27]
/*  mfmaIndex:61  */
_ds_load_u8 v[vgprValuB_X1_I0+2], v[vgprLocalReadAddrB] offset:10816 // L -> Reg lro=10752 swapByteOffset=0 ti=32 vIdx=2 rIdx=0 oIdx=0 buffer=1 iui=0
_ds_load_u8 v80, v[vgprLocalReadAddrB] offset:10912 // L -> Reg lro=10752 swapByteOffset=0 ti=32 vIdx=2 rIdx=1 oIdx=0 buffer=1 iui=0
v_mfma_i32_16x16x16i8 a[28+0:31+0], v[vgprValuA_X0_I0+1+0+0], v[vgprValuB_X0_I0+2+0+0], a[28:31]
/*  mfmaIndex:62  */
_ds_load_u8_d16_hi v81, v[vgprLocalReadAddrB] offset:11008 // L -> Reg lro=10752 swapByteOffset=0 ti=32 vIdx=2 rIdx=2 oIdx=0 buffer=1 iui=0
_ds_load_u8_d16_hi v82, v[vgprLocalReadAddrB] offset:11104 // L -> Reg lro=10752 swapByteOffset=0 ti=32 vIdx=2 rIdx=3 oIdx=0 buffer=1 iui=0
/* localReadsVacancy: latencyLeft 1 */
v_mfma_i32_16x16x16i8 a[32+0:35+0], v[vgprValuA_X0_I0+2+0+0], v[vgprValuB_X0_I0+2+0+0], a[32:35]
/* numPrefetchIter=0 */
/* dataAtIterA=5 numReadsIterA=7 skipReadsIterA=1 readsPerIterA=12 */
/* dataAtIterB=5 numReadsIterB=7 skipReadsIterB=1 readsPerIterB=12 */


/* iter 7 (last unrolled loop) */

/*  grEndMfmaIndex:0, lwStartMfmaIndex:60, lwEndMfmaIndex:60  */
/*  numMfmaForLR:8, barrierMfmaIndex:63 */
/*  mfmaIndex:63  */
s_waitcnt lgkmcnt(0)                               // lgkmcnt=0 vmcnt=-1wait for prior local read local write old=0, new=0 newLW=0 newLR=0
/* pack scheduling: packAIdx:3, packBIdx:3 */
_v_lshl_or_b32 v[vgprValuA_X1_I0+0], v65, 0x8, v[vgprValuA_X1_I0+0] // pack two int8 Vgpr to one half Vgpr
_v_lshl_or_b32 v66, v67, 0x8, v66                  // pack two int8 Vgpr to one half Vgpr
v_or_b32 v[vgprValuA_X1_I0+0], v[vgprValuA_X1_I0+0], v66 // pack two half Vgpr to one Vgpr
_v_lshl_or_b32 v[vgprValuB_X1_I0+0], v74, 0x8, v[vgprValuB_X1_I0+0] // pack two int8 Vgpr to one half Vgpr
_v_lshl_or_b32 v75, v76, 0x8, v75                  // pack two int8 Vgpr to one half Vgpr
v_or_b32 v[vgprValuB_X1_I0+0], v[vgprValuB_X1_I0+0], v75 // pack two half Vgpr to one Vgpr
_v_lshl_or_b32 v[vgprValuA_X1_I0+1], v68, 0x8, v[vgprValuA_X1_I0+1] // pack two int8 Vgpr to one half Vgpr
_v_lshl_or_b32 v69, v70, 0x8, v69                  // pack two int8 Vgpr to one half Vgpr
v_or_b32 v[vgprValuA_X1_I0+1], v[vgprValuA_X1_I0+1], v69 // pack two half Vgpr to one Vgpr
v_mfma_i32_16x16x16i8 a[0+0:3+0], v[vgprValuA_X1_I0+0+0+0], v[vgprValuB_X1_I0+0+0+0], a[0:3]
/*  mfmaIndex:64  */
/* pack scheduling: packAIdx:6, packBIdx:3 */
_v_lshl_or_b32 v[vgprValuA_X1_I0+2], v71, 0x8, v[vgprValuA_X1_I0+2] // pack two int8 Vgpr to one half Vgpr
_v_lshl_or_b32 v72, v73, 0x8, v72                  // pack two int8 Vgpr to one half Vgpr
v_or_b32 v[vgprValuA_X1_I0+2], v[vgprValuA_X1_I0+2], v72 // pack two half Vgpr to one Vgpr
_v_lshl_or_b32 v[vgprValuB_X1_I0+1], v77, 0x8, v[vgprValuB_X1_I0+1] // pack two int8 Vgpr to one half Vgpr
_v_lshl_or_b32 v78, v79, 0x8, v78                  // pack two int8 Vgpr to one half Vgpr
v_or_b32 v[vgprValuB_X1_I0+1], v[vgprValuB_X1_I0+1], v78 // pack two half Vgpr to one Vgpr
v_mfma_i32_16x16x16i8 a[4+0:7+0], v[vgprValuA_X1_I0+1+0+0], v[vgprValuB_X1_I0+0+0+0], a[4:7]
/*  mfmaIndex:65  */
/* pack scheduling: packAIdx:9, packBIdx:3 */
_v_lshl_or_b32 v[vgprValuB_X1_I0+2], v80, 0x8, v[vgprValuB_X1_I0+2] // pack two int8 Vgpr to one half Vgpr
_v_lshl_or_b32 v81, v82, 0x8, v81                  // pack two int8 Vgpr to one half Vgpr
v_or_b32 v[vgprValuB_X1_I0+2], v[vgprValuB_X1_I0+2], v81 // pack two half Vgpr to one Vgpr
v_mfma_i32_16x16x16i8 a[8+0:11+0], v[vgprValuA_X1_I0+2+0+0], v[vgprValuB_X1_I0+0+0+0], a[8:11]
/*  mfmaIndex:66  */
v_mfma_i32_16x16x16i8 a[20+0:23+0], v[vgprValuA_X1_I0+2+0+0], v[vgprValuB_X1_I0+1+0+0], a[20:23]
/*  mfmaIndex:67  */
	;; [unrolled: 2-line block ×6, first 2 shown]
v_mfma_i32_16x16x16i8 a[32+0:35+0], v[vgprValuA_X1_I0+2+0+0], v[vgprValuB_X1_I0+2+0+0], a[32:35]
/* numPrefetchIter=0 */
/* dataAtIterA=6 numReadsIterA=7 skipReadsIterA=0 readsPerIterA=12 */
/* dataAtIterB=6 numReadsIterB=7 skipReadsIterB=0 readsPerIterB=12 */

/* Stores for OptNLL */
Summation_End_OptNLL_16:
/* endSummation: add vgpr [0...44) to pool */

/* Mapping of Acc register -> C Vgpr register */
/* computeStoreVgprs */
v_lshrrev_b32 v4, 6, v[vgprSerial]                 // v4 = v[vgprSerial] / 64
v_lshrrev_b32 v1, 1, v4                            // v1 = v4 / 2
v_mul_lo_u32 v1, 0x10, v1                          // wave coordination offset 1
v_and_b32 v5, 15, v[vgprSerial]                    // v5 = v[vgprSerial] % 16
_v_add_lshl_u32 v1, v5, v1, 0                      // coordination 1 = vwb *(wave_id1 + tid1)
v_mul_lo_u32 v2, v1, s[sgprStrideC1J]              //  offset 1
v_mul_lo_u32 v3, v1, s[sgprStrideD1J]              //  offset 1
v_and_b32 v0, 63, v[vgprSerial]                    // v0 = v[vgprSerial] % 64
v_lshrrev_b32 v0, 4, v0                            // v0 = v0 / 16
v_lshlrev_b32 v0, 0x2, v0                          // thread0 * continuous_output
v_and_b32 v5, 1, v4                                // v5 = v4 % 2
v_mul_lo_u32 v5, 0x10, v5                          // wave coordination offset 0
_v_add_lshl_u32 v0, v5, v0, 0                      // coordination 0 = vwa *(wave_id0 + tid0)
s_mul_i32 s31, 96, s[sgprWorkGroup0]               // wgp0 * MT0
_v_add_u32 v0, s31, v0                             // coord 0 = (tid0/MI_m)*4 + waveG0*MIB_m + MT0*SG0
s_mul_i32 s31, 96, s[sgprWorkGroup1]               // wgp1 * MT1
_v_add_u32 v1, s31, v1                             // coord 1 = (tid0%MI_m) + waveG1*MIB_n + MT1*SG1
GW_B0_E0_19:

/* edge=0, allocate 2 sgpr. perBatchTmpS=2 perBatchMaskS=0 perElementMaskS=0 elementsPerBatch=61 */
/* optSingleColVgpr=1 optSharedColVgpr=0 optSGPRUsage=BufferLoad_Mask optSrdIncForRow=1 */

/******************************************/
/* Global Write Batch #0 (d1,d0,vc1,vc0) = */
/*    (0,0,0,0:vw4); (0,1,0,0:vw4); (0,2,0,0:vw4); (1,0,0,0:vw4); (1,1,0,0:vw4); (1,2,0,0:vw4); (2,0,0,0:vw4); (2,1,0,0:vw4); (2,2,0,0:vw4) */
/******************************************/

/* calc coords, apply mask, and issue loads (if necessary) */
/* (d1,vc1,d0,vc0)=(0,0,0,0) */
/* (d1,vc1,d0,vc0)=(0,0,1,0) */
	;; [unrolled: 1-line block ×9, first 2 shown]
_v_add_lshl_u32 v6, v3, v0, 0x2                    // optSingleColVgpr scaleToBpe: sharedAddrVgpr <- cinRowPtr + coord0, scaled by BPE. BSHERE:coord0=0, coord0Vgpr=0
v_accvgpr_read_b32 v[vgprValuC+8], acc0 // copy acc to vreg[0]
v_accvgpr_read_b32 v[vgprValuC+9], acc1 // copy acc to vreg[1]
v_accvgpr_read_b32 v[vgprValuC+10], acc2 // copy acc to vreg[2]
v_accvgpr_read_b32 v[vgprValuC+11], acc3 // copy acc to vreg[3]
v_accvgpr_read_b32 v[vgprValuC+12], acc4 // copy acc to vreg[4]
v_accvgpr_read_b32 v[vgprValuC+13], acc5 // copy acc to vreg[5]
v_accvgpr_read_b32 v[vgprValuC+14], acc6 // copy acc to vreg[6]
v_accvgpr_read_b32 v[vgprValuC+15], acc7 // copy acc to vreg[7]
v_accvgpr_read_b32 v[vgprValuC+16], acc8 // copy acc to vreg[8]
v_accvgpr_read_b32 v[vgprValuC+17], acc9 // copy acc to vreg[9]
v_accvgpr_read_b32 v[vgprValuC+18], acc10 // copy acc to vreg[10]
v_accvgpr_read_b32 v[vgprValuC+19], acc11 // copy acc to vreg[11]
v_accvgpr_read_b32 v[vgprValuC+20], acc12 // copy acc to vreg[12]
v_accvgpr_read_b32 v[vgprValuC+21], acc13 // copy acc to vreg[13]
v_accvgpr_read_b32 v[vgprValuC+22], acc14 // copy acc to vreg[14]
v_accvgpr_read_b32 v[vgprValuC+23], acc15 // copy acc to vreg[15]
v_accvgpr_read_b32 v[vgprValuC+24], acc16 // copy acc to vreg[16]
v_accvgpr_read_b32 v[vgprValuC+25], acc17 // copy acc to vreg[17]
v_accvgpr_read_b32 v[vgprValuC+26], acc18 // copy acc to vreg[18]
v_accvgpr_read_b32 v[vgprValuC+27], acc19 // copy acc to vreg[19]
v_accvgpr_read_b32 v[vgprValuC+28], acc20 // copy acc to vreg[20]
v_accvgpr_read_b32 v[vgprValuC+29], acc21 // copy acc to vreg[21]
v_accvgpr_read_b32 v[vgprValuC+30], acc22 // copy acc to vreg[22]
v_accvgpr_read_b32 v[vgprValuC+31], acc23 // copy acc to vreg[23]
v_accvgpr_read_b32 v[vgprValuC+32], acc24 // copy acc to vreg[24]
v_accvgpr_read_b32 v[vgprValuC+33], acc25 // copy acc to vreg[25]
v_accvgpr_read_b32 v[vgprValuC+34], acc26 // copy acc to vreg[26]
v_accvgpr_read_b32 v[vgprValuC+35], acc27 // copy acc to vreg[27]
v_accvgpr_read_b32 v[vgprValuC+36], acc28 // copy acc to vreg[28]
v_accvgpr_read_b32 v[vgprValuC+37], acc29 // copy acc to vreg[29]
v_accvgpr_read_b32 v[vgprValuC+38], acc30 // copy acc to vreg[30]
v_accvgpr_read_b32 v[vgprValuC+39], acc31 // copy acc to vreg[31]
v_accvgpr_read_b32 v[vgprValuC+40], acc32 // copy acc to vreg[32]
v_accvgpr_read_b32 v[vgprValuC+41], acc33 // copy acc to vreg[33]
v_accvgpr_read_b32 v[vgprValuC+42], acc34 // copy acc to vreg[34]
v_accvgpr_read_b32 v[vgprValuC+43], acc35 // copy acc to vreg[35]
s_nop 1                                            // 2 wait states required before reading vgpr

/* apply mask, calc new C and issue writes */
_buffer_store_b128 v[8:11], v6, s[sgprSrdD:sgprSrdD+3], 0, offen, offset:0 // store D
_buffer_store_b128 v[12:15], v6, s[sgprSrdD:sgprSrdD+3], 0, offen, offset:128 // store D
	;; [unrolled: 1-line block ×3, first 2 shown]
s_mul_i32 s32, s[sgprStrideD1J], 128               // scale StrideD *= numRows(32) * bpe
s_add_u32  s[sgprSrdD+0], s[sgprSrdD+0], s32       // incToNextRow: gra SRD += inc(lower)
s_addc_u32  s[sgprSrdD+1], s[sgprSrdD+1], 0        // incToNextRow: gra SRD += inc(upper)
_buffer_store_b128 v[20:23], v6, s[sgprSrdD:sgprSrdD+3], 0, offen, offset:0 // store D
_buffer_store_b128 v[24:27], v6, s[sgprSrdD:sgprSrdD+3], 0, offen, offset:128 // store D
	;; [unrolled: 1-line block ×3, first 2 shown]
s_mul_i32 s32, s[sgprStrideD1J], 128               // scale StrideD *= numRows(32) * bpe
s_add_u32  s[sgprSrdD+0], s[sgprSrdD+0], s32       // incToNextRow: gra SRD += inc(lower)
s_addc_u32  s[sgprSrdD+1], s[sgprSrdD+1], 0        // incToNextRow: gra SRD += inc(upper)
_buffer_store_b128 v[32:35], v6, s[sgprSrdD:sgprSrdD+3], 0, offen, offset:0 // store D
_buffer_store_b128 v[36:39], v6, s[sgprSrdD:sgprSrdD+3], 0, offen, offset:128 // store D
	;; [unrolled: 1-line block ×3, first 2 shown]
s_nop 0                                            // 1 wait state required when next inst writes vgprs held by previous dwordx4 store inst
s_branch label_GW_End_21                           // jump to end
label_GW_End_21:

s_endpgm                                           // Kernel End
OptNLL_End_15:


/******************************************/
/* Ord. NoLoadLoop - Begin                                      */
/******************************************/


	;; [unrolled: 1-line block ×4, first 2 shown]
/* iter 0 (last unrolled loop) */

/*  grEndMfmaIndex:0, lwStartMfmaIndex:60, lwEndMfmaIndex:60  */
/*  numMfmaForLR:8, barrierMfmaIndex:63 */
/*  mfmaIndex:0  */
s_waitcnt lgkmcnt(0)                               // lgkmcnt=0 vmcnt=-1wait for prior local read local write old=0, new=0 newLW=0 newLR=0
/* pack scheduling: packAIdx:3, packBIdx:3 */
_v_lshl_or_b32 v[vgprValuA_X0_I0+0], v47, 0x8, v[vgprValuA_X0_I0+0] // pack two int8 Vgpr to one half Vgpr
_v_lshl_or_b32 v48, v49, 0x8, v48                  // pack two int8 Vgpr to one half Vgpr
v_or_b32 v[vgprValuA_X0_I0+0], v[vgprValuA_X0_I0+0], v48 // pack two half Vgpr to one Vgpr
_v_lshl_or_b32 v[vgprValuB_X0_I0+0], v56, 0x8, v[vgprValuB_X0_I0+0] // pack two int8 Vgpr to one half Vgpr
_v_lshl_or_b32 v57, v58, 0x8, v57                  // pack two int8 Vgpr to one half Vgpr
v_or_b32 v[vgprValuB_X0_I0+0], v[vgprValuB_X0_I0+0], v57 // pack two half Vgpr to one Vgpr
_v_lshl_or_b32 v[vgprValuA_X0_I0+1], v50, 0x8, v[vgprValuA_X0_I0+1] // pack two int8 Vgpr to one half Vgpr
_v_lshl_or_b32 v51, v52, 0x8, v51                  // pack two int8 Vgpr to one half Vgpr
v_or_b32 v[vgprValuA_X0_I0+1], v[vgprValuA_X0_I0+1], v51 // pack two half Vgpr to one Vgpr
v_mfma_i32_16x16x16i8 a[0+0:3+0], v[vgprValuA_X0_I0+0+0+0], v[vgprValuB_X0_I0+0+0+0], a[0:3]
/*  mfmaIndex:1  */
_ds_load_u8 v[vgprValuA_X1_I0+0], v[vgprLocalReadAddrA] offset:1536 // L -> Reg lro=1536 swapByteOffset=0 ti=32 vIdx=0 rIdx=0 oIdx=0 buffer=1 iui=0
_ds_load_u8 v65, v[vgprLocalReadAddrA] offset:1632 // L -> Reg lro=1536 swapByteOffset=0 ti=32 vIdx=0 rIdx=1 oIdx=0 buffer=1 iui=0
_ds_load_u8_d16_hi v66, v[vgprLocalReadAddrA] offset:1728 // L -> Reg lro=1536 swapByteOffset=0 ti=32 vIdx=0 rIdx=2 oIdx=0 buffer=1 iui=0
/* pack scheduling: packAIdx:6, packBIdx:3 */
_v_lshl_or_b32 v[vgprValuA_X0_I0+2], v53, 0x8, v[vgprValuA_X0_I0+2] // pack two int8 Vgpr to one half Vgpr
_v_lshl_or_b32 v54, v55, 0x8, v54                  // pack two int8 Vgpr to one half Vgpr
v_or_b32 v[vgprValuA_X0_I0+2], v[vgprValuA_X0_I0+2], v54 // pack two half Vgpr to one Vgpr
_v_lshl_or_b32 v[vgprValuB_X0_I0+1], v59, 0x8, v[vgprValuB_X0_I0+1] // pack two int8 Vgpr to one half Vgpr
_v_lshl_or_b32 v60, v61, 0x8, v60                  // pack two int8 Vgpr to one half Vgpr
v_or_b32 v[vgprValuB_X0_I0+1], v[vgprValuB_X0_I0+1], v60 // pack two half Vgpr to one Vgpr
v_mfma_i32_16x16x16i8 a[4+0:7+0], v[vgprValuA_X0_I0+1+0+0], v[vgprValuB_X0_I0+0+0+0], a[4:7]
/*  mfmaIndex:2  */
_ds_load_u8_d16_hi v67, v[vgprLocalReadAddrA] offset:1824 // L -> Reg lro=1536 swapByteOffset=0 ti=32 vIdx=0 rIdx=3 oIdx=0 buffer=1 iui=0
_ds_load_u8 v[vgprValuB_X1_I0+0], v[vgprLocalReadAddrB] offset:1536 // L -> Reg lro=1536 swapByteOffset=0 ti=32 vIdx=0 rIdx=0 oIdx=0 buffer=1 iui=0
_ds_load_u8 v74, v[vgprLocalReadAddrB] offset:1632 // L -> Reg lro=1536 swapByteOffset=0 ti=32 vIdx=0 rIdx=1 oIdx=0 buffer=1 iui=0
/* pack scheduling: packAIdx:9, packBIdx:3 */
_v_lshl_or_b32 v[vgprValuB_X0_I0+2], v62, 0x8, v[vgprValuB_X0_I0+2] // pack two int8 Vgpr to one half Vgpr
_v_lshl_or_b32 v63, v64, 0x8, v63                  // pack two int8 Vgpr to one half Vgpr
v_or_b32 v[vgprValuB_X0_I0+2], v[vgprValuB_X0_I0+2], v63 // pack two half Vgpr to one Vgpr
v_mfma_i32_16x16x16i8 a[8+0:11+0], v[vgprValuA_X0_I0+2+0+0], v[vgprValuB_X0_I0+0+0+0], a[8:11]
/*  mfmaIndex:3  */
_ds_load_u8_d16_hi v75, v[vgprLocalReadAddrB] offset:1728 // L -> Reg lro=1536 swapByteOffset=0 ti=32 vIdx=0 rIdx=2 oIdx=0 buffer=1 iui=0
_ds_load_u8_d16_hi v76, v[vgprLocalReadAddrB] offset:1824 // L -> Reg lro=1536 swapByteOffset=0 ti=32 vIdx=0 rIdx=3 oIdx=0 buffer=1 iui=0
_ds_load_u8 v[vgprValuA_X1_I0+1], v[vgprLocalReadAddrA] offset:1568 // L -> Reg lro=1536 swapByteOffset=0 ti=32 vIdx=1 rIdx=0 oIdx=0 buffer=1 iui=0
v_mfma_i32_16x16x16i8 a[20+0:23+0], v[vgprValuA_X0_I0+2+0+0], v[vgprValuB_X0_I0+1+0+0], a[20:23]
/*  mfmaIndex:4  */
_ds_load_u8 v68, v[vgprLocalReadAddrA] offset:1664 // L -> Reg lro=1536 swapByteOffset=0 ti=32 vIdx=1 rIdx=1 oIdx=0 buffer=1 iui=0
_ds_load_u8_d16_hi v69, v[vgprLocalReadAddrA] offset:1760 // L -> Reg lro=1536 swapByteOffset=0 ti=32 vIdx=1 rIdx=2 oIdx=0 buffer=1 iui=0
_ds_load_u8_d16_hi v70, v[vgprLocalReadAddrA] offset:1856 // L -> Reg lro=1536 swapByteOffset=0 ti=32 vIdx=1 rIdx=3 oIdx=0 buffer=1 iui=0
v_mfma_i32_16x16x16i8 a[16+0:19+0], v[vgprValuA_X0_I0+1+0+0], v[vgprValuB_X0_I0+1+0+0], a[16:19]
/*  mfmaIndex:5  */
_ds_load_u8 v[vgprValuA_X1_I0+2], v[vgprLocalReadAddrA] offset:1600 // L -> Reg lro=1536 swapByteOffset=0 ti=32 vIdx=2 rIdx=0 oIdx=0 buffer=1 iui=0
_ds_load_u8 v71, v[vgprLocalReadAddrA] offset:1696 // L -> Reg lro=1536 swapByteOffset=0 ti=32 vIdx=2 rIdx=1 oIdx=0 buffer=1 iui=0
_ds_load_u8_d16_hi v72, v[vgprLocalReadAddrA] offset:1792 // L -> Reg lro=1536 swapByteOffset=0 ti=32 vIdx=2 rIdx=2 oIdx=0 buffer=1 iui=0
v_mfma_i32_16x16x16i8 a[12+0:15+0], v[vgprValuA_X0_I0+0+0+0], v[vgprValuB_X0_I0+1+0+0], a[12:15]
/*  mfmaIndex:6  */
_ds_load_u8_d16_hi v73, v[vgprLocalReadAddrA] offset:1888 // L -> Reg lro=1536 swapByteOffset=0 ti=32 vIdx=2 rIdx=3 oIdx=0 buffer=1 iui=0
_ds_load_u8 v[vgprValuB_X1_I0+1], v[vgprLocalReadAddrB] offset:1568 // L -> Reg lro=1536 swapByteOffset=0 ti=32 vIdx=1 rIdx=0 oIdx=0 buffer=1 iui=0
_ds_load_u8 v77, v[vgprLocalReadAddrB] offset:1664 // L -> Reg lro=1536 swapByteOffset=0 ti=32 vIdx=1 rIdx=1 oIdx=0 buffer=1 iui=0
v_mfma_i32_16x16x16i8 a[24+0:27+0], v[vgprValuA_X0_I0+0+0+0], v[vgprValuB_X0_I0+2+0+0], a[24:27]
/*  mfmaIndex:7  */
_ds_load_u8_d16_hi v78, v[vgprLocalReadAddrB] offset:1760 // L -> Reg lro=1536 swapByteOffset=0 ti=32 vIdx=1 rIdx=2 oIdx=0 buffer=1 iui=0
_ds_load_u8_d16_hi v79, v[vgprLocalReadAddrB] offset:1856 // L -> Reg lro=1536 swapByteOffset=0 ti=32 vIdx=1 rIdx=3 oIdx=0 buffer=1 iui=0
_ds_load_u8 v[vgprValuB_X1_I0+2], v[vgprLocalReadAddrB] offset:1600 // L -> Reg lro=1536 swapByteOffset=0 ti=32 vIdx=2 rIdx=0 oIdx=0 buffer=1 iui=0
v_mfma_i32_16x16x16i8 a[28+0:31+0], v[vgprValuA_X0_I0+1+0+0], v[vgprValuB_X0_I0+2+0+0], a[28:31]
/*  mfmaIndex:8  */
_ds_load_u8 v80, v[vgprLocalReadAddrB] offset:1696 // L -> Reg lro=1536 swapByteOffset=0 ti=32 vIdx=2 rIdx=1 oIdx=0 buffer=1 iui=0
_ds_load_u8_d16_hi v81, v[vgprLocalReadAddrB] offset:1792 // L -> Reg lro=1536 swapByteOffset=0 ti=32 vIdx=2 rIdx=2 oIdx=0 buffer=1 iui=0
_ds_load_u8_d16_hi v82, v[vgprLocalReadAddrB] offset:1888 // L -> Reg lro=1536 swapByteOffset=0 ti=32 vIdx=2 rIdx=3 oIdx=0 buffer=1 iui=0
v_mfma_i32_16x16x16i8 a[32+0:35+0], v[vgprValuA_X0_I0+2+0+0], v[vgprValuB_X0_I0+2+0+0], a[32:35]
/* numPrefetchIter=0 */
/* dataAtIterA=-1 numReadsIterA=1 skipReadsIterA=1 readsPerIterA=12 */
/* dataAtIterB=-1 numReadsIterB=1 skipReadsIterB=1 readsPerIterB=12 */


/* iter 1 (last unrolled loop) */

/*  grEndMfmaIndex:0, lwStartMfmaIndex:60, lwEndMfmaIndex:60  */
/*  numMfmaForLR:8, barrierMfmaIndex:63 */
/*  mfmaIndex:9  */
_ds_load_u8 v[vgprValuA_X0_I0+0], v[vgprLocalReadAddrA] offset:3072 // L -> Reg lro=3072 swapByteOffset=0 ti=32 vIdx=0 rIdx=0 oIdx=0 buffer=0 iui=0
_ds_load_u8 v47, v[vgprLocalReadAddrA] offset:3168 // L -> Reg lro=3072 swapByteOffset=0 ti=32 vIdx=0 rIdx=1 oIdx=0 buffer=0 iui=0
_ds_load_u8_d16_hi v48, v[vgprLocalReadAddrA] offset:3264 // L -> Reg lro=3072 swapByteOffset=0 ti=32 vIdx=0 rIdx=2 oIdx=0 buffer=0 iui=0
s_waitcnt lgkmcnt(3)                               // lgkmcnt=0 vmcnt=-1wait for prior local read local write old=0, new=3 newLW=0 newLR=3
/* pack scheduling: packAIdx:3, packBIdx:3 */
_v_lshl_or_b32 v[vgprValuA_X1_I0+0], v65, 0x8, v[vgprValuA_X1_I0+0] // pack two int8 Vgpr to one half Vgpr
_v_lshl_or_b32 v66, v67, 0x8, v66                  // pack two int8 Vgpr to one half Vgpr
v_or_b32 v[vgprValuA_X1_I0+0], v[vgprValuA_X1_I0+0], v66 // pack two half Vgpr to one Vgpr
_v_lshl_or_b32 v[vgprValuB_X1_I0+0], v74, 0x8, v[vgprValuB_X1_I0+0] // pack two int8 Vgpr to one half Vgpr
_v_lshl_or_b32 v75, v76, 0x8, v75                  // pack two int8 Vgpr to one half Vgpr
v_or_b32 v[vgprValuB_X1_I0+0], v[vgprValuB_X1_I0+0], v75 // pack two half Vgpr to one Vgpr
_v_lshl_or_b32 v[vgprValuA_X1_I0+1], v68, 0x8, v[vgprValuA_X1_I0+1] // pack two int8 Vgpr to one half Vgpr
_v_lshl_or_b32 v69, v70, 0x8, v69                  // pack two int8 Vgpr to one half Vgpr
v_or_b32 v[vgprValuA_X1_I0+1], v[vgprValuA_X1_I0+1], v69 // pack two half Vgpr to one Vgpr
v_mfma_i32_16x16x16i8 a[0+0:3+0], v[vgprValuA_X1_I0+0+0+0], v[vgprValuB_X1_I0+0+0+0], a[0:3]
/*  mfmaIndex:10  */
_ds_load_u8_d16_hi v49, v[vgprLocalReadAddrA] offset:3360 // L -> Reg lro=3072 swapByteOffset=0 ti=32 vIdx=0 rIdx=3 oIdx=0 buffer=0 iui=0
_ds_load_u8 v[vgprValuB_X0_I0+0], v[vgprLocalReadAddrB] offset:3072 // L -> Reg lro=3072 swapByteOffset=0 ti=32 vIdx=0 rIdx=0 oIdx=0 buffer=0 iui=0
_ds_load_u8 v56, v[vgprLocalReadAddrB] offset:3168 // L -> Reg lro=3072 swapByteOffset=0 ti=32 vIdx=0 rIdx=1 oIdx=0 buffer=0 iui=0
/* pack scheduling: packAIdx:6, packBIdx:3 */
_v_lshl_or_b32 v[vgprValuA_X1_I0+2], v71, 0x8, v[vgprValuA_X1_I0+2] // pack two int8 Vgpr to one half Vgpr
_v_lshl_or_b32 v72, v73, 0x8, v72                  // pack two int8 Vgpr to one half Vgpr
v_or_b32 v[vgprValuA_X1_I0+2], v[vgprValuA_X1_I0+2], v72 // pack two half Vgpr to one Vgpr
_v_lshl_or_b32 v[vgprValuB_X1_I0+1], v77, 0x8, v[vgprValuB_X1_I0+1] // pack two int8 Vgpr to one half Vgpr
_v_lshl_or_b32 v78, v79, 0x8, v78                  // pack two int8 Vgpr to one half Vgpr
v_or_b32 v[vgprValuB_X1_I0+1], v[vgprValuB_X1_I0+1], v78 // pack two half Vgpr to one Vgpr
v_mfma_i32_16x16x16i8 a[4+0:7+0], v[vgprValuA_X1_I0+1+0+0], v[vgprValuB_X1_I0+0+0+0], a[4:7]
/*  mfmaIndex:11  */
_ds_load_u8_d16_hi v57, v[vgprLocalReadAddrB] offset:3264 // L -> Reg lro=3072 swapByteOffset=0 ti=32 vIdx=0 rIdx=2 oIdx=0 buffer=0 iui=0
_ds_load_u8_d16_hi v58, v[vgprLocalReadAddrB] offset:3360 // L -> Reg lro=3072 swapByteOffset=0 ti=32 vIdx=0 rIdx=3 oIdx=0 buffer=0 iui=0
_ds_load_u8 v[vgprValuA_X0_I0+1], v[vgprLocalReadAddrA] offset:3104 // L -> Reg lro=3072 swapByteOffset=0 ti=32 vIdx=1 rIdx=0 oIdx=0 buffer=0 iui=0
/* pack scheduling: packAIdx:9, packBIdx:3 */
_v_lshl_or_b32 v[vgprValuB_X1_I0+2], v80, 0x8, v[vgprValuB_X1_I0+2] // pack two int8 Vgpr to one half Vgpr
_v_lshl_or_b32 v81, v82, 0x8, v81                  // pack two int8 Vgpr to one half Vgpr
v_or_b32 v[vgprValuB_X1_I0+2], v[vgprValuB_X1_I0+2], v81 // pack two half Vgpr to one Vgpr
v_mfma_i32_16x16x16i8 a[8+0:11+0], v[vgprValuA_X1_I0+2+0+0], v[vgprValuB_X1_I0+0+0+0], a[8:11]
/*  mfmaIndex:12  */
_ds_load_u8 v50, v[vgprLocalReadAddrA] offset:3200 // L -> Reg lro=3072 swapByteOffset=0 ti=32 vIdx=1 rIdx=1 oIdx=0 buffer=0 iui=0
_ds_load_u8_d16_hi v51, v[vgprLocalReadAddrA] offset:3296 // L -> Reg lro=3072 swapByteOffset=0 ti=32 vIdx=1 rIdx=2 oIdx=0 buffer=0 iui=0
_ds_load_u8_d16_hi v52, v[vgprLocalReadAddrA] offset:3392 // L -> Reg lro=3072 swapByteOffset=0 ti=32 vIdx=1 rIdx=3 oIdx=0 buffer=0 iui=0
v_mfma_i32_16x16x16i8 a[20+0:23+0], v[vgprValuA_X1_I0+2+0+0], v[vgprValuB_X1_I0+1+0+0], a[20:23]
/*  mfmaIndex:13  */
_ds_load_u8 v[vgprValuA_X0_I0+2], v[vgprLocalReadAddrA] offset:3136 // L -> Reg lro=3072 swapByteOffset=0 ti=32 vIdx=2 rIdx=0 oIdx=0 buffer=0 iui=0
_ds_load_u8 v53, v[vgprLocalReadAddrA] offset:3232 // L -> Reg lro=3072 swapByteOffset=0 ti=32 vIdx=2 rIdx=1 oIdx=0 buffer=0 iui=0
_ds_load_u8_d16_hi v54, v[vgprLocalReadAddrA] offset:3328 // L -> Reg lro=3072 swapByteOffset=0 ti=32 vIdx=2 rIdx=2 oIdx=0 buffer=0 iui=0
v_mfma_i32_16x16x16i8 a[16+0:19+0], v[vgprValuA_X1_I0+1+0+0], v[vgprValuB_X1_I0+1+0+0], a[16:19]
/*  mfmaIndex:14  */
_ds_load_u8_d16_hi v55, v[vgprLocalReadAddrA] offset:3424 // L -> Reg lro=3072 swapByteOffset=0 ti=32 vIdx=2 rIdx=3 oIdx=0 buffer=0 iui=0
_ds_load_u8 v[vgprValuB_X0_I0+1], v[vgprLocalReadAddrB] offset:3104 // L -> Reg lro=3072 swapByteOffset=0 ti=32 vIdx=1 rIdx=0 oIdx=0 buffer=0 iui=0
_ds_load_u8 v59, v[vgprLocalReadAddrB] offset:3200 // L -> Reg lro=3072 swapByteOffset=0 ti=32 vIdx=1 rIdx=1 oIdx=0 buffer=0 iui=0
v_mfma_i32_16x16x16i8 a[12+0:15+0], v[vgprValuA_X1_I0+0+0+0], v[vgprValuB_X1_I0+1+0+0], a[12:15]
/*  mfmaIndex:15  */
_ds_load_u8_d16_hi v60, v[vgprLocalReadAddrB] offset:3296 // L -> Reg lro=3072 swapByteOffset=0 ti=32 vIdx=1 rIdx=2 oIdx=0 buffer=0 iui=0
_ds_load_u8_d16_hi v61, v[vgprLocalReadAddrB] offset:3392 // L -> Reg lro=3072 swapByteOffset=0 ti=32 vIdx=1 rIdx=3 oIdx=0 buffer=0 iui=0
v_mfma_i32_16x16x16i8 a[24+0:27+0], v[vgprValuA_X1_I0+0+0+0], v[vgprValuB_X1_I0+2+0+0], a[24:27]
/*  mfmaIndex:16  */
_ds_load_u8 v[vgprValuB_X0_I0+2], v[vgprLocalReadAddrB] offset:3136 // L -> Reg lro=3072 swapByteOffset=0 ti=32 vIdx=2 rIdx=0 oIdx=0 buffer=0 iui=0
_ds_load_u8 v62, v[vgprLocalReadAddrB] offset:3232 // L -> Reg lro=3072 swapByteOffset=0 ti=32 vIdx=2 rIdx=1 oIdx=0 buffer=0 iui=0
v_mfma_i32_16x16x16i8 a[28+0:31+0], v[vgprValuA_X1_I0+1+0+0], v[vgprValuB_X1_I0+2+0+0], a[28:31]
/*  mfmaIndex:17  */
_ds_load_u8_d16_hi v63, v[vgprLocalReadAddrB] offset:3328 // L -> Reg lro=3072 swapByteOffset=0 ti=32 vIdx=2 rIdx=2 oIdx=0 buffer=0 iui=0
_ds_load_u8_d16_hi v64, v[vgprLocalReadAddrB] offset:3424 // L -> Reg lro=3072 swapByteOffset=0 ti=32 vIdx=2 rIdx=3 oIdx=0 buffer=0 iui=0
/* localReadsVacancy: latencyLeft 1 */
v_mfma_i32_16x16x16i8 a[32+0:35+0], v[vgprValuA_X1_I0+2+0+0], v[vgprValuB_X1_I0+2+0+0], a[32:35]
/* numPrefetchIter=0 */
/* dataAtIterA=0 numReadsIterA=2 skipReadsIterA=1 readsPerIterA=12 */
/* dataAtIterB=0 numReadsIterB=2 skipReadsIterB=1 readsPerIterB=12 */


/* iter 2 (last unrolled loop) */

/*  grEndMfmaIndex:0, lwStartMfmaIndex:60, lwEndMfmaIndex:60  */
/*  numMfmaForLR:8, barrierMfmaIndex:63 */
/*  mfmaIndex:18  */
_ds_load_u8 v[vgprValuA_X1_I0+0], v[vgprLocalReadAddrA] offset:4608 // L -> Reg lro=4608 swapByteOffset=0 ti=32 vIdx=0 rIdx=0 oIdx=0 buffer=1 iui=0
_ds_load_u8 v65, v[vgprLocalReadAddrA] offset:4704 // L -> Reg lro=4608 swapByteOffset=0 ti=32 vIdx=0 rIdx=1 oIdx=0 buffer=1 iui=0
_ds_load_u8_d16_hi v66, v[vgprLocalReadAddrA] offset:4800 // L -> Reg lro=4608 swapByteOffset=0 ti=32 vIdx=0 rIdx=2 oIdx=0 buffer=1 iui=0
s_waitcnt lgkmcnt(3)                               // lgkmcnt=0 vmcnt=-1wait for prior local read local write old=0, new=3 newLW=0 newLR=3
/* pack scheduling: packAIdx:3, packBIdx:3 */
_v_lshl_or_b32 v[vgprValuA_X0_I0+0], v47, 0x8, v[vgprValuA_X0_I0+0] // pack two int8 Vgpr to one half Vgpr
_v_lshl_or_b32 v48, v49, 0x8, v48                  // pack two int8 Vgpr to one half Vgpr
v_or_b32 v[vgprValuA_X0_I0+0], v[vgprValuA_X0_I0+0], v48 // pack two half Vgpr to one Vgpr
_v_lshl_or_b32 v[vgprValuB_X0_I0+0], v56, 0x8, v[vgprValuB_X0_I0+0] // pack two int8 Vgpr to one half Vgpr
_v_lshl_or_b32 v57, v58, 0x8, v57                  // pack two int8 Vgpr to one half Vgpr
v_or_b32 v[vgprValuB_X0_I0+0], v[vgprValuB_X0_I0+0], v57 // pack two half Vgpr to one Vgpr
_v_lshl_or_b32 v[vgprValuA_X0_I0+1], v50, 0x8, v[vgprValuA_X0_I0+1] // pack two int8 Vgpr to one half Vgpr
_v_lshl_or_b32 v51, v52, 0x8, v51                  // pack two int8 Vgpr to one half Vgpr
v_or_b32 v[vgprValuA_X0_I0+1], v[vgprValuA_X0_I0+1], v51 // pack two half Vgpr to one Vgpr
v_mfma_i32_16x16x16i8 a[0+0:3+0], v[vgprValuA_X0_I0+0+0+0], v[vgprValuB_X0_I0+0+0+0], a[0:3]
/*  mfmaIndex:19  */
_ds_load_u8_d16_hi v67, v[vgprLocalReadAddrA] offset:4896 // L -> Reg lro=4608 swapByteOffset=0 ti=32 vIdx=0 rIdx=3 oIdx=0 buffer=1 iui=0
_ds_load_u8 v[vgprValuB_X1_I0+0], v[vgprLocalReadAddrB] offset:4608 // L -> Reg lro=4608 swapByteOffset=0 ti=32 vIdx=0 rIdx=0 oIdx=0 buffer=1 iui=0
_ds_load_u8 v74, v[vgprLocalReadAddrB] offset:4704 // L -> Reg lro=4608 swapByteOffset=0 ti=32 vIdx=0 rIdx=1 oIdx=0 buffer=1 iui=0
/* pack scheduling: packAIdx:6, packBIdx:3 */
_v_lshl_or_b32 v[vgprValuA_X0_I0+2], v53, 0x8, v[vgprValuA_X0_I0+2] // pack two int8 Vgpr to one half Vgpr
_v_lshl_or_b32 v54, v55, 0x8, v54                  // pack two int8 Vgpr to one half Vgpr
v_or_b32 v[vgprValuA_X0_I0+2], v[vgprValuA_X0_I0+2], v54 // pack two half Vgpr to one Vgpr
_v_lshl_or_b32 v[vgprValuB_X0_I0+1], v59, 0x8, v[vgprValuB_X0_I0+1] // pack two int8 Vgpr to one half Vgpr
_v_lshl_or_b32 v60, v61, 0x8, v60                  // pack two int8 Vgpr to one half Vgpr
v_or_b32 v[vgprValuB_X0_I0+1], v[vgprValuB_X0_I0+1], v60 // pack two half Vgpr to one Vgpr
v_mfma_i32_16x16x16i8 a[4+0:7+0], v[vgprValuA_X0_I0+1+0+0], v[vgprValuB_X0_I0+0+0+0], a[4:7]
/*  mfmaIndex:20  */
_ds_load_u8_d16_hi v75, v[vgprLocalReadAddrB] offset:4800 // L -> Reg lro=4608 swapByteOffset=0 ti=32 vIdx=0 rIdx=2 oIdx=0 buffer=1 iui=0
_ds_load_u8_d16_hi v76, v[vgprLocalReadAddrB] offset:4896 // L -> Reg lro=4608 swapByteOffset=0 ti=32 vIdx=0 rIdx=3 oIdx=0 buffer=1 iui=0
_ds_load_u8 v[vgprValuA_X1_I0+1], v[vgprLocalReadAddrA] offset:4640 // L -> Reg lro=4608 swapByteOffset=0 ti=32 vIdx=1 rIdx=0 oIdx=0 buffer=1 iui=0
/* pack scheduling: packAIdx:9, packBIdx:3 */
_v_lshl_or_b32 v[vgprValuB_X0_I0+2], v62, 0x8, v[vgprValuB_X0_I0+2] // pack two int8 Vgpr to one half Vgpr
_v_lshl_or_b32 v63, v64, 0x8, v63                  // pack two int8 Vgpr to one half Vgpr
v_or_b32 v[vgprValuB_X0_I0+2], v[vgprValuB_X0_I0+2], v63 // pack two half Vgpr to one Vgpr
v_mfma_i32_16x16x16i8 a[8+0:11+0], v[vgprValuA_X0_I0+2+0+0], v[vgprValuB_X0_I0+0+0+0], a[8:11]
/*  mfmaIndex:21  */
_ds_load_u8 v68, v[vgprLocalReadAddrA] offset:4736 // L -> Reg lro=4608 swapByteOffset=0 ti=32 vIdx=1 rIdx=1 oIdx=0 buffer=1 iui=0
_ds_load_u8_d16_hi v69, v[vgprLocalReadAddrA] offset:4832 // L -> Reg lro=4608 swapByteOffset=0 ti=32 vIdx=1 rIdx=2 oIdx=0 buffer=1 iui=0
_ds_load_u8_d16_hi v70, v[vgprLocalReadAddrA] offset:4928 // L -> Reg lro=4608 swapByteOffset=0 ti=32 vIdx=1 rIdx=3 oIdx=0 buffer=1 iui=0
v_mfma_i32_16x16x16i8 a[20+0:23+0], v[vgprValuA_X0_I0+2+0+0], v[vgprValuB_X0_I0+1+0+0], a[20:23]
/*  mfmaIndex:22  */
_ds_load_u8 v[vgprValuA_X1_I0+2], v[vgprLocalReadAddrA] offset:4672 // L -> Reg lro=4608 swapByteOffset=0 ti=32 vIdx=2 rIdx=0 oIdx=0 buffer=1 iui=0
_ds_load_u8 v71, v[vgprLocalReadAddrA] offset:4768 // L -> Reg lro=4608 swapByteOffset=0 ti=32 vIdx=2 rIdx=1 oIdx=0 buffer=1 iui=0
_ds_load_u8_d16_hi v72, v[vgprLocalReadAddrA] offset:4864 // L -> Reg lro=4608 swapByteOffset=0 ti=32 vIdx=2 rIdx=2 oIdx=0 buffer=1 iui=0
v_mfma_i32_16x16x16i8 a[16+0:19+0], v[vgprValuA_X0_I0+1+0+0], v[vgprValuB_X0_I0+1+0+0], a[16:19]
/*  mfmaIndex:23  */
_ds_load_u8_d16_hi v73, v[vgprLocalReadAddrA] offset:4960 // L -> Reg lro=4608 swapByteOffset=0 ti=32 vIdx=2 rIdx=3 oIdx=0 buffer=1 iui=0
_ds_load_u8 v[vgprValuB_X1_I0+1], v[vgprLocalReadAddrB] offset:4640 // L -> Reg lro=4608 swapByteOffset=0 ti=32 vIdx=1 rIdx=0 oIdx=0 buffer=1 iui=0
_ds_load_u8 v77, v[vgprLocalReadAddrB] offset:4736 // L -> Reg lro=4608 swapByteOffset=0 ti=32 vIdx=1 rIdx=1 oIdx=0 buffer=1 iui=0
v_mfma_i32_16x16x16i8 a[12+0:15+0], v[vgprValuA_X0_I0+0+0+0], v[vgprValuB_X0_I0+1+0+0], a[12:15]
/*  mfmaIndex:24  */
_ds_load_u8_d16_hi v78, v[vgprLocalReadAddrB] offset:4832 // L -> Reg lro=4608 swapByteOffset=0 ti=32 vIdx=1 rIdx=2 oIdx=0 buffer=1 iui=0
_ds_load_u8_d16_hi v79, v[vgprLocalReadAddrB] offset:4928 // L -> Reg lro=4608 swapByteOffset=0 ti=32 vIdx=1 rIdx=3 oIdx=0 buffer=1 iui=0
v_mfma_i32_16x16x16i8 a[24+0:27+0], v[vgprValuA_X0_I0+0+0+0], v[vgprValuB_X0_I0+2+0+0], a[24:27]
/*  mfmaIndex:25  */
_ds_load_u8 v[vgprValuB_X1_I0+2], v[vgprLocalReadAddrB] offset:4672 // L -> Reg lro=4608 swapByteOffset=0 ti=32 vIdx=2 rIdx=0 oIdx=0 buffer=1 iui=0
_ds_load_u8 v80, v[vgprLocalReadAddrB] offset:4768 // L -> Reg lro=4608 swapByteOffset=0 ti=32 vIdx=2 rIdx=1 oIdx=0 buffer=1 iui=0
v_mfma_i32_16x16x16i8 a[28+0:31+0], v[vgprValuA_X0_I0+1+0+0], v[vgprValuB_X0_I0+2+0+0], a[28:31]
/*  mfmaIndex:26  */
_ds_load_u8_d16_hi v81, v[vgprLocalReadAddrB] offset:4864 // L -> Reg lro=4608 swapByteOffset=0 ti=32 vIdx=2 rIdx=2 oIdx=0 buffer=1 iui=0
_ds_load_u8_d16_hi v82, v[vgprLocalReadAddrB] offset:4960 // L -> Reg lro=4608 swapByteOffset=0 ti=32 vIdx=2 rIdx=3 oIdx=0 buffer=1 iui=0
/* localReadsVacancy: latencyLeft 1 */
v_mfma_i32_16x16x16i8 a[32+0:35+0], v[vgprValuA_X0_I0+2+0+0], v[vgprValuB_X0_I0+2+0+0], a[32:35]
/* numPrefetchIter=0 */
/* dataAtIterA=1 numReadsIterA=3 skipReadsIterA=1 readsPerIterA=12 */
/* dataAtIterB=1 numReadsIterB=3 skipReadsIterB=1 readsPerIterB=12 */


/* iter 3 (last unrolled loop) */

/*  grEndMfmaIndex:0, lwStartMfmaIndex:60, lwEndMfmaIndex:60  */
/*  numMfmaForLR:8, barrierMfmaIndex:63 */
/*  mfmaIndex:27  */
_ds_load_u8 v[vgprValuA_X0_I0+0], v[vgprLocalReadAddrA] offset:6144 // L -> Reg lro=6144 swapByteOffset=0 ti=32 vIdx=0 rIdx=0 oIdx=0 buffer=0 iui=0
_ds_load_u8 v47, v[vgprLocalReadAddrA] offset:6240 // L -> Reg lro=6144 swapByteOffset=0 ti=32 vIdx=0 rIdx=1 oIdx=0 buffer=0 iui=0
_ds_load_u8_d16_hi v48, v[vgprLocalReadAddrA] offset:6336 // L -> Reg lro=6144 swapByteOffset=0 ti=32 vIdx=0 rIdx=2 oIdx=0 buffer=0 iui=0
s_waitcnt lgkmcnt(3)                               // lgkmcnt=0 vmcnt=-1wait for prior local read local write old=0, new=3 newLW=0 newLR=3
/* pack scheduling: packAIdx:3, packBIdx:3 */
_v_lshl_or_b32 v[vgprValuA_X1_I0+0], v65, 0x8, v[vgprValuA_X1_I0+0] // pack two int8 Vgpr to one half Vgpr
_v_lshl_or_b32 v66, v67, 0x8, v66                  // pack two int8 Vgpr to one half Vgpr
v_or_b32 v[vgprValuA_X1_I0+0], v[vgprValuA_X1_I0+0], v66 // pack two half Vgpr to one Vgpr
_v_lshl_or_b32 v[vgprValuB_X1_I0+0], v74, 0x8, v[vgprValuB_X1_I0+0] // pack two int8 Vgpr to one half Vgpr
_v_lshl_or_b32 v75, v76, 0x8, v75                  // pack two int8 Vgpr to one half Vgpr
v_or_b32 v[vgprValuB_X1_I0+0], v[vgprValuB_X1_I0+0], v75 // pack two half Vgpr to one Vgpr
_v_lshl_or_b32 v[vgprValuA_X1_I0+1], v68, 0x8, v[vgprValuA_X1_I0+1] // pack two int8 Vgpr to one half Vgpr
_v_lshl_or_b32 v69, v70, 0x8, v69                  // pack two int8 Vgpr to one half Vgpr
v_or_b32 v[vgprValuA_X1_I0+1], v[vgprValuA_X1_I0+1], v69 // pack two half Vgpr to one Vgpr
v_mfma_i32_16x16x16i8 a[0+0:3+0], v[vgprValuA_X1_I0+0+0+0], v[vgprValuB_X1_I0+0+0+0], a[0:3]
/*  mfmaIndex:28  */
_ds_load_u8_d16_hi v49, v[vgprLocalReadAddrA] offset:6432 // L -> Reg lro=6144 swapByteOffset=0 ti=32 vIdx=0 rIdx=3 oIdx=0 buffer=0 iui=0
_ds_load_u8 v[vgprValuB_X0_I0+0], v[vgprLocalReadAddrB] offset:6144 // L -> Reg lro=6144 swapByteOffset=0 ti=32 vIdx=0 rIdx=0 oIdx=0 buffer=0 iui=0
_ds_load_u8 v56, v[vgprLocalReadAddrB] offset:6240 // L -> Reg lro=6144 swapByteOffset=0 ti=32 vIdx=0 rIdx=1 oIdx=0 buffer=0 iui=0
/* pack scheduling: packAIdx:6, packBIdx:3 */
_v_lshl_or_b32 v[vgprValuA_X1_I0+2], v71, 0x8, v[vgprValuA_X1_I0+2] // pack two int8 Vgpr to one half Vgpr
_v_lshl_or_b32 v72, v73, 0x8, v72                  // pack two int8 Vgpr to one half Vgpr
v_or_b32 v[vgprValuA_X1_I0+2], v[vgprValuA_X1_I0+2], v72 // pack two half Vgpr to one Vgpr
_v_lshl_or_b32 v[vgprValuB_X1_I0+1], v77, 0x8, v[vgprValuB_X1_I0+1] // pack two int8 Vgpr to one half Vgpr
_v_lshl_or_b32 v78, v79, 0x8, v78                  // pack two int8 Vgpr to one half Vgpr
v_or_b32 v[vgprValuB_X1_I0+1], v[vgprValuB_X1_I0+1], v78 // pack two half Vgpr to one Vgpr
v_mfma_i32_16x16x16i8 a[4+0:7+0], v[vgprValuA_X1_I0+1+0+0], v[vgprValuB_X1_I0+0+0+0], a[4:7]
/*  mfmaIndex:29  */
_ds_load_u8_d16_hi v57, v[vgprLocalReadAddrB] offset:6336 // L -> Reg lro=6144 swapByteOffset=0 ti=32 vIdx=0 rIdx=2 oIdx=0 buffer=0 iui=0
_ds_load_u8_d16_hi v58, v[vgprLocalReadAddrB] offset:6432 // L -> Reg lro=6144 swapByteOffset=0 ti=32 vIdx=0 rIdx=3 oIdx=0 buffer=0 iui=0
_ds_load_u8 v[vgprValuA_X0_I0+1], v[vgprLocalReadAddrA] offset:6176 // L -> Reg lro=6144 swapByteOffset=0 ti=32 vIdx=1 rIdx=0 oIdx=0 buffer=0 iui=0
/* pack scheduling: packAIdx:9, packBIdx:3 */
_v_lshl_or_b32 v[vgprValuB_X1_I0+2], v80, 0x8, v[vgprValuB_X1_I0+2] // pack two int8 Vgpr to one half Vgpr
_v_lshl_or_b32 v81, v82, 0x8, v81                  // pack two int8 Vgpr to one half Vgpr
v_or_b32 v[vgprValuB_X1_I0+2], v[vgprValuB_X1_I0+2], v81 // pack two half Vgpr to one Vgpr
v_mfma_i32_16x16x16i8 a[8+0:11+0], v[vgprValuA_X1_I0+2+0+0], v[vgprValuB_X1_I0+0+0+0], a[8:11]
/*  mfmaIndex:30  */
_ds_load_u8 v50, v[vgprLocalReadAddrA] offset:6272 // L -> Reg lro=6144 swapByteOffset=0 ti=32 vIdx=1 rIdx=1 oIdx=0 buffer=0 iui=0
_ds_load_u8_d16_hi v51, v[vgprLocalReadAddrA] offset:6368 // L -> Reg lro=6144 swapByteOffset=0 ti=32 vIdx=1 rIdx=2 oIdx=0 buffer=0 iui=0
_ds_load_u8_d16_hi v52, v[vgprLocalReadAddrA] offset:6464 // L -> Reg lro=6144 swapByteOffset=0 ti=32 vIdx=1 rIdx=3 oIdx=0 buffer=0 iui=0
v_mfma_i32_16x16x16i8 a[20+0:23+0], v[vgprValuA_X1_I0+2+0+0], v[vgprValuB_X1_I0+1+0+0], a[20:23]
/*  mfmaIndex:31  */
_ds_load_u8 v[vgprValuA_X0_I0+2], v[vgprLocalReadAddrA] offset:6208 // L -> Reg lro=6144 swapByteOffset=0 ti=32 vIdx=2 rIdx=0 oIdx=0 buffer=0 iui=0
_ds_load_u8 v53, v[vgprLocalReadAddrA] offset:6304 // L -> Reg lro=6144 swapByteOffset=0 ti=32 vIdx=2 rIdx=1 oIdx=0 buffer=0 iui=0
_ds_load_u8_d16_hi v54, v[vgprLocalReadAddrA] offset:6400 // L -> Reg lro=6144 swapByteOffset=0 ti=32 vIdx=2 rIdx=2 oIdx=0 buffer=0 iui=0
v_mfma_i32_16x16x16i8 a[16+0:19+0], v[vgprValuA_X1_I0+1+0+0], v[vgprValuB_X1_I0+1+0+0], a[16:19]
/*  mfmaIndex:32  */
_ds_load_u8_d16_hi v55, v[vgprLocalReadAddrA] offset:6496 // L -> Reg lro=6144 swapByteOffset=0 ti=32 vIdx=2 rIdx=3 oIdx=0 buffer=0 iui=0
_ds_load_u8 v[vgprValuB_X0_I0+1], v[vgprLocalReadAddrB] offset:6176 // L -> Reg lro=6144 swapByteOffset=0 ti=32 vIdx=1 rIdx=0 oIdx=0 buffer=0 iui=0
_ds_load_u8 v59, v[vgprLocalReadAddrB] offset:6272 // L -> Reg lro=6144 swapByteOffset=0 ti=32 vIdx=1 rIdx=1 oIdx=0 buffer=0 iui=0
v_mfma_i32_16x16x16i8 a[12+0:15+0], v[vgprValuA_X1_I0+0+0+0], v[vgprValuB_X1_I0+1+0+0], a[12:15]
/*  mfmaIndex:33  */
_ds_load_u8_d16_hi v60, v[vgprLocalReadAddrB] offset:6368 // L -> Reg lro=6144 swapByteOffset=0 ti=32 vIdx=1 rIdx=2 oIdx=0 buffer=0 iui=0
_ds_load_u8_d16_hi v61, v[vgprLocalReadAddrB] offset:6464 // L -> Reg lro=6144 swapByteOffset=0 ti=32 vIdx=1 rIdx=3 oIdx=0 buffer=0 iui=0
v_mfma_i32_16x16x16i8 a[24+0:27+0], v[vgprValuA_X1_I0+0+0+0], v[vgprValuB_X1_I0+2+0+0], a[24:27]
/*  mfmaIndex:34  */
_ds_load_u8 v[vgprValuB_X0_I0+2], v[vgprLocalReadAddrB] offset:6208 // L -> Reg lro=6144 swapByteOffset=0 ti=32 vIdx=2 rIdx=0 oIdx=0 buffer=0 iui=0
_ds_load_u8 v62, v[vgprLocalReadAddrB] offset:6304 // L -> Reg lro=6144 swapByteOffset=0 ti=32 vIdx=2 rIdx=1 oIdx=0 buffer=0 iui=0
v_mfma_i32_16x16x16i8 a[28+0:31+0], v[vgprValuA_X1_I0+1+0+0], v[vgprValuB_X1_I0+2+0+0], a[28:31]
/*  mfmaIndex:35  */
_ds_load_u8_d16_hi v63, v[vgprLocalReadAddrB] offset:6400 // L -> Reg lro=6144 swapByteOffset=0 ti=32 vIdx=2 rIdx=2 oIdx=0 buffer=0 iui=0
_ds_load_u8_d16_hi v64, v[vgprLocalReadAddrB] offset:6496 // L -> Reg lro=6144 swapByteOffset=0 ti=32 vIdx=2 rIdx=3 oIdx=0 buffer=0 iui=0
/* localReadsVacancy: latencyLeft 1 */
v_mfma_i32_16x16x16i8 a[32+0:35+0], v[vgprValuA_X1_I0+2+0+0], v[vgprValuB_X1_I0+2+0+0], a[32:35]
/* numPrefetchIter=0 */
/* dataAtIterA=2 numReadsIterA=4 skipReadsIterA=1 readsPerIterA=12 */
/* dataAtIterB=2 numReadsIterB=4 skipReadsIterB=1 readsPerIterB=12 */


/* iter 4 (last unrolled loop) */

/*  grEndMfmaIndex:0, lwStartMfmaIndex:60, lwEndMfmaIndex:60  */
/*  numMfmaForLR:8, barrierMfmaIndex:63 */
/*  mfmaIndex:36  */
_ds_load_u8 v[vgprValuA_X1_I0+0], v[vgprLocalReadAddrA] offset:7680 // L -> Reg lro=7680 swapByteOffset=0 ti=32 vIdx=0 rIdx=0 oIdx=0 buffer=1 iui=0
_ds_load_u8 v65, v[vgprLocalReadAddrA] offset:7776 // L -> Reg lro=7680 swapByteOffset=0 ti=32 vIdx=0 rIdx=1 oIdx=0 buffer=1 iui=0
_ds_load_u8_d16_hi v66, v[vgprLocalReadAddrA] offset:7872 // L -> Reg lro=7680 swapByteOffset=0 ti=32 vIdx=0 rIdx=2 oIdx=0 buffer=1 iui=0
s_waitcnt lgkmcnt(3)                               // lgkmcnt=0 vmcnt=-1wait for prior local read local write old=0, new=3 newLW=0 newLR=3
/* pack scheduling: packAIdx:3, packBIdx:3 */
_v_lshl_or_b32 v[vgprValuA_X0_I0+0], v47, 0x8, v[vgprValuA_X0_I0+0] // pack two int8 Vgpr to one half Vgpr
_v_lshl_or_b32 v48, v49, 0x8, v48                  // pack two int8 Vgpr to one half Vgpr
v_or_b32 v[vgprValuA_X0_I0+0], v[vgprValuA_X0_I0+0], v48 // pack two half Vgpr to one Vgpr
_v_lshl_or_b32 v[vgprValuB_X0_I0+0], v56, 0x8, v[vgprValuB_X0_I0+0] // pack two int8 Vgpr to one half Vgpr
_v_lshl_or_b32 v57, v58, 0x8, v57                  // pack two int8 Vgpr to one half Vgpr
v_or_b32 v[vgprValuB_X0_I0+0], v[vgprValuB_X0_I0+0], v57 // pack two half Vgpr to one Vgpr
_v_lshl_or_b32 v[vgprValuA_X0_I0+1], v50, 0x8, v[vgprValuA_X0_I0+1] // pack two int8 Vgpr to one half Vgpr
_v_lshl_or_b32 v51, v52, 0x8, v51                  // pack two int8 Vgpr to one half Vgpr
v_or_b32 v[vgprValuA_X0_I0+1], v[vgprValuA_X0_I0+1], v51 // pack two half Vgpr to one Vgpr
v_mfma_i32_16x16x16i8 a[0+0:3+0], v[vgprValuA_X0_I0+0+0+0], v[vgprValuB_X0_I0+0+0+0], a[0:3]
/*  mfmaIndex:37  */
_ds_load_u8_d16_hi v67, v[vgprLocalReadAddrA] offset:7968 // L -> Reg lro=7680 swapByteOffset=0 ti=32 vIdx=0 rIdx=3 oIdx=0 buffer=1 iui=0
_ds_load_u8 v[vgprValuB_X1_I0+0], v[vgprLocalReadAddrB] offset:7680 // L -> Reg lro=7680 swapByteOffset=0 ti=32 vIdx=0 rIdx=0 oIdx=0 buffer=1 iui=0
_ds_load_u8 v74, v[vgprLocalReadAddrB] offset:7776 // L -> Reg lro=7680 swapByteOffset=0 ti=32 vIdx=0 rIdx=1 oIdx=0 buffer=1 iui=0
/* pack scheduling: packAIdx:6, packBIdx:3 */
_v_lshl_or_b32 v[vgprValuA_X0_I0+2], v53, 0x8, v[vgprValuA_X0_I0+2] // pack two int8 Vgpr to one half Vgpr
_v_lshl_or_b32 v54, v55, 0x8, v54                  // pack two int8 Vgpr to one half Vgpr
v_or_b32 v[vgprValuA_X0_I0+2], v[vgprValuA_X0_I0+2], v54 // pack two half Vgpr to one Vgpr
_v_lshl_or_b32 v[vgprValuB_X0_I0+1], v59, 0x8, v[vgprValuB_X0_I0+1] // pack two int8 Vgpr to one half Vgpr
_v_lshl_or_b32 v60, v61, 0x8, v60                  // pack two int8 Vgpr to one half Vgpr
v_or_b32 v[vgprValuB_X0_I0+1], v[vgprValuB_X0_I0+1], v60 // pack two half Vgpr to one Vgpr
v_mfma_i32_16x16x16i8 a[4+0:7+0], v[vgprValuA_X0_I0+1+0+0], v[vgprValuB_X0_I0+0+0+0], a[4:7]
/*  mfmaIndex:38  */
_ds_load_u8_d16_hi v75, v[vgprLocalReadAddrB] offset:7872 // L -> Reg lro=7680 swapByteOffset=0 ti=32 vIdx=0 rIdx=2 oIdx=0 buffer=1 iui=0
_ds_load_u8_d16_hi v76, v[vgprLocalReadAddrB] offset:7968 // L -> Reg lro=7680 swapByteOffset=0 ti=32 vIdx=0 rIdx=3 oIdx=0 buffer=1 iui=0
_ds_load_u8 v[vgprValuA_X1_I0+1], v[vgprLocalReadAddrA] offset:7712 // L -> Reg lro=7680 swapByteOffset=0 ti=32 vIdx=1 rIdx=0 oIdx=0 buffer=1 iui=0
/* pack scheduling: packAIdx:9, packBIdx:3 */
_v_lshl_or_b32 v[vgprValuB_X0_I0+2], v62, 0x8, v[vgprValuB_X0_I0+2] // pack two int8 Vgpr to one half Vgpr
_v_lshl_or_b32 v63, v64, 0x8, v63                  // pack two int8 Vgpr to one half Vgpr
v_or_b32 v[vgprValuB_X0_I0+2], v[vgprValuB_X0_I0+2], v63 // pack two half Vgpr to one Vgpr
v_mfma_i32_16x16x16i8 a[8+0:11+0], v[vgprValuA_X0_I0+2+0+0], v[vgprValuB_X0_I0+0+0+0], a[8:11]
/*  mfmaIndex:39  */
_ds_load_u8 v68, v[vgprLocalReadAddrA] offset:7808 // L -> Reg lro=7680 swapByteOffset=0 ti=32 vIdx=1 rIdx=1 oIdx=0 buffer=1 iui=0
_ds_load_u8_d16_hi v69, v[vgprLocalReadAddrA] offset:7904 // L -> Reg lro=7680 swapByteOffset=0 ti=32 vIdx=1 rIdx=2 oIdx=0 buffer=1 iui=0
_ds_load_u8_d16_hi v70, v[vgprLocalReadAddrA] offset:8000 // L -> Reg lro=7680 swapByteOffset=0 ti=32 vIdx=1 rIdx=3 oIdx=0 buffer=1 iui=0
v_mfma_i32_16x16x16i8 a[20+0:23+0], v[vgprValuA_X0_I0+2+0+0], v[vgprValuB_X0_I0+1+0+0], a[20:23]
/*  mfmaIndex:40  */
_ds_load_u8 v[vgprValuA_X1_I0+2], v[vgprLocalReadAddrA] offset:7744 // L -> Reg lro=7680 swapByteOffset=0 ti=32 vIdx=2 rIdx=0 oIdx=0 buffer=1 iui=0
_ds_load_u8 v71, v[vgprLocalReadAddrA] offset:7840 // L -> Reg lro=7680 swapByteOffset=0 ti=32 vIdx=2 rIdx=1 oIdx=0 buffer=1 iui=0
_ds_load_u8_d16_hi v72, v[vgprLocalReadAddrA] offset:7936 // L -> Reg lro=7680 swapByteOffset=0 ti=32 vIdx=2 rIdx=2 oIdx=0 buffer=1 iui=0
v_mfma_i32_16x16x16i8 a[16+0:19+0], v[vgprValuA_X0_I0+1+0+0], v[vgprValuB_X0_I0+1+0+0], a[16:19]
/*  mfmaIndex:41  */
_ds_load_u8_d16_hi v73, v[vgprLocalReadAddrA] offset:8032 // L -> Reg lro=7680 swapByteOffset=0 ti=32 vIdx=2 rIdx=3 oIdx=0 buffer=1 iui=0
_ds_load_u8 v[vgprValuB_X1_I0+1], v[vgprLocalReadAddrB] offset:7712 // L -> Reg lro=7680 swapByteOffset=0 ti=32 vIdx=1 rIdx=0 oIdx=0 buffer=1 iui=0
_ds_load_u8 v77, v[vgprLocalReadAddrB] offset:7808 // L -> Reg lro=7680 swapByteOffset=0 ti=32 vIdx=1 rIdx=1 oIdx=0 buffer=1 iui=0
v_mfma_i32_16x16x16i8 a[12+0:15+0], v[vgprValuA_X0_I0+0+0+0], v[vgprValuB_X0_I0+1+0+0], a[12:15]
/*  mfmaIndex:42  */
_ds_load_u8_d16_hi v78, v[vgprLocalReadAddrB] offset:7904 // L -> Reg lro=7680 swapByteOffset=0 ti=32 vIdx=1 rIdx=2 oIdx=0 buffer=1 iui=0
_ds_load_u8_d16_hi v79, v[vgprLocalReadAddrB] offset:8000 // L -> Reg lro=7680 swapByteOffset=0 ti=32 vIdx=1 rIdx=3 oIdx=0 buffer=1 iui=0
v_mfma_i32_16x16x16i8 a[24+0:27+0], v[vgprValuA_X0_I0+0+0+0], v[vgprValuB_X0_I0+2+0+0], a[24:27]
/*  mfmaIndex:43  */
_ds_load_u8 v[vgprValuB_X1_I0+2], v[vgprLocalReadAddrB] offset:7744 // L -> Reg lro=7680 swapByteOffset=0 ti=32 vIdx=2 rIdx=0 oIdx=0 buffer=1 iui=0
_ds_load_u8 v80, v[vgprLocalReadAddrB] offset:7840 // L -> Reg lro=7680 swapByteOffset=0 ti=32 vIdx=2 rIdx=1 oIdx=0 buffer=1 iui=0
v_mfma_i32_16x16x16i8 a[28+0:31+0], v[vgprValuA_X0_I0+1+0+0], v[vgprValuB_X0_I0+2+0+0], a[28:31]
/*  mfmaIndex:44  */
_ds_load_u8_d16_hi v81, v[vgprLocalReadAddrB] offset:7936 // L -> Reg lro=7680 swapByteOffset=0 ti=32 vIdx=2 rIdx=2 oIdx=0 buffer=1 iui=0
_ds_load_u8_d16_hi v82, v[vgprLocalReadAddrB] offset:8032 // L -> Reg lro=7680 swapByteOffset=0 ti=32 vIdx=2 rIdx=3 oIdx=0 buffer=1 iui=0
/* localReadsVacancy: latencyLeft 1 */
v_mfma_i32_16x16x16i8 a[32+0:35+0], v[vgprValuA_X0_I0+2+0+0], v[vgprValuB_X0_I0+2+0+0], a[32:35]
/* numPrefetchIter=0 */
/* dataAtIterA=3 numReadsIterA=5 skipReadsIterA=1 readsPerIterA=12 */
/* dataAtIterB=3 numReadsIterB=5 skipReadsIterB=1 readsPerIterB=12 */


/* iter 5 (last unrolled loop) */

/*  grEndMfmaIndex:0, lwStartMfmaIndex:60, lwEndMfmaIndex:60  */
/*  numMfmaForLR:8, barrierMfmaIndex:63 */
/*  mfmaIndex:45  */
_ds_load_u8 v[vgprValuA_X0_I0+0], v[vgprLocalReadAddrA] offset:9216 // L -> Reg lro=9216 swapByteOffset=0 ti=32 vIdx=0 rIdx=0 oIdx=0 buffer=0 iui=0
_ds_load_u8 v47, v[vgprLocalReadAddrA] offset:9312 // L -> Reg lro=9216 swapByteOffset=0 ti=32 vIdx=0 rIdx=1 oIdx=0 buffer=0 iui=0
_ds_load_u8_d16_hi v48, v[vgprLocalReadAddrA] offset:9408 // L -> Reg lro=9216 swapByteOffset=0 ti=32 vIdx=0 rIdx=2 oIdx=0 buffer=0 iui=0
s_waitcnt lgkmcnt(3)                               // lgkmcnt=0 vmcnt=-1wait for prior local read local write old=0, new=3 newLW=0 newLR=3
/* pack scheduling: packAIdx:3, packBIdx:3 */
_v_lshl_or_b32 v[vgprValuA_X1_I0+0], v65, 0x8, v[vgprValuA_X1_I0+0] // pack two int8 Vgpr to one half Vgpr
_v_lshl_or_b32 v66, v67, 0x8, v66                  // pack two int8 Vgpr to one half Vgpr
v_or_b32 v[vgprValuA_X1_I0+0], v[vgprValuA_X1_I0+0], v66 // pack two half Vgpr to one Vgpr
_v_lshl_or_b32 v[vgprValuB_X1_I0+0], v74, 0x8, v[vgprValuB_X1_I0+0] // pack two int8 Vgpr to one half Vgpr
_v_lshl_or_b32 v75, v76, 0x8, v75                  // pack two int8 Vgpr to one half Vgpr
v_or_b32 v[vgprValuB_X1_I0+0], v[vgprValuB_X1_I0+0], v75 // pack two half Vgpr to one Vgpr
_v_lshl_or_b32 v[vgprValuA_X1_I0+1], v68, 0x8, v[vgprValuA_X1_I0+1] // pack two int8 Vgpr to one half Vgpr
_v_lshl_or_b32 v69, v70, 0x8, v69                  // pack two int8 Vgpr to one half Vgpr
v_or_b32 v[vgprValuA_X1_I0+1], v[vgprValuA_X1_I0+1], v69 // pack two half Vgpr to one Vgpr
v_mfma_i32_16x16x16i8 a[0+0:3+0], v[vgprValuA_X1_I0+0+0+0], v[vgprValuB_X1_I0+0+0+0], a[0:3]
/*  mfmaIndex:46  */
_ds_load_u8_d16_hi v49, v[vgprLocalReadAddrA] offset:9504 // L -> Reg lro=9216 swapByteOffset=0 ti=32 vIdx=0 rIdx=3 oIdx=0 buffer=0 iui=0
_ds_load_u8 v[vgprValuB_X0_I0+0], v[vgprLocalReadAddrB] offset:9216 // L -> Reg lro=9216 swapByteOffset=0 ti=32 vIdx=0 rIdx=0 oIdx=0 buffer=0 iui=0
_ds_load_u8 v56, v[vgprLocalReadAddrB] offset:9312 // L -> Reg lro=9216 swapByteOffset=0 ti=32 vIdx=0 rIdx=1 oIdx=0 buffer=0 iui=0
/* pack scheduling: packAIdx:6, packBIdx:3 */
_v_lshl_or_b32 v[vgprValuA_X1_I0+2], v71, 0x8, v[vgprValuA_X1_I0+2] // pack two int8 Vgpr to one half Vgpr
_v_lshl_or_b32 v72, v73, 0x8, v72                  // pack two int8 Vgpr to one half Vgpr
v_or_b32 v[vgprValuA_X1_I0+2], v[vgprValuA_X1_I0+2], v72 // pack two half Vgpr to one Vgpr
_v_lshl_or_b32 v[vgprValuB_X1_I0+1], v77, 0x8, v[vgprValuB_X1_I0+1] // pack two int8 Vgpr to one half Vgpr
_v_lshl_or_b32 v78, v79, 0x8, v78                  // pack two int8 Vgpr to one half Vgpr
v_or_b32 v[vgprValuB_X1_I0+1], v[vgprValuB_X1_I0+1], v78 // pack two half Vgpr to one Vgpr
v_mfma_i32_16x16x16i8 a[4+0:7+0], v[vgprValuA_X1_I0+1+0+0], v[vgprValuB_X1_I0+0+0+0], a[4:7]
/*  mfmaIndex:47  */
_ds_load_u8_d16_hi v57, v[vgprLocalReadAddrB] offset:9408 // L -> Reg lro=9216 swapByteOffset=0 ti=32 vIdx=0 rIdx=2 oIdx=0 buffer=0 iui=0
_ds_load_u8_d16_hi v58, v[vgprLocalReadAddrB] offset:9504 // L -> Reg lro=9216 swapByteOffset=0 ti=32 vIdx=0 rIdx=3 oIdx=0 buffer=0 iui=0
_ds_load_u8 v[vgprValuA_X0_I0+1], v[vgprLocalReadAddrA] offset:9248 // L -> Reg lro=9216 swapByteOffset=0 ti=32 vIdx=1 rIdx=0 oIdx=0 buffer=0 iui=0
/* pack scheduling: packAIdx:9, packBIdx:3 */
_v_lshl_or_b32 v[vgprValuB_X1_I0+2], v80, 0x8, v[vgprValuB_X1_I0+2] // pack two int8 Vgpr to one half Vgpr
_v_lshl_or_b32 v81, v82, 0x8, v81                  // pack two int8 Vgpr to one half Vgpr
v_or_b32 v[vgprValuB_X1_I0+2], v[vgprValuB_X1_I0+2], v81 // pack two half Vgpr to one Vgpr
v_mfma_i32_16x16x16i8 a[8+0:11+0], v[vgprValuA_X1_I0+2+0+0], v[vgprValuB_X1_I0+0+0+0], a[8:11]
/*  mfmaIndex:48  */
_ds_load_u8 v50, v[vgprLocalReadAddrA] offset:9344 // L -> Reg lro=9216 swapByteOffset=0 ti=32 vIdx=1 rIdx=1 oIdx=0 buffer=0 iui=0
_ds_load_u8_d16_hi v51, v[vgprLocalReadAddrA] offset:9440 // L -> Reg lro=9216 swapByteOffset=0 ti=32 vIdx=1 rIdx=2 oIdx=0 buffer=0 iui=0
_ds_load_u8_d16_hi v52, v[vgprLocalReadAddrA] offset:9536 // L -> Reg lro=9216 swapByteOffset=0 ti=32 vIdx=1 rIdx=3 oIdx=0 buffer=0 iui=0
v_mfma_i32_16x16x16i8 a[20+0:23+0], v[vgprValuA_X1_I0+2+0+0], v[vgprValuB_X1_I0+1+0+0], a[20:23]
/*  mfmaIndex:49  */
_ds_load_u8 v[vgprValuA_X0_I0+2], v[vgprLocalReadAddrA] offset:9280 // L -> Reg lro=9216 swapByteOffset=0 ti=32 vIdx=2 rIdx=0 oIdx=0 buffer=0 iui=0
_ds_load_u8 v53, v[vgprLocalReadAddrA] offset:9376 // L -> Reg lro=9216 swapByteOffset=0 ti=32 vIdx=2 rIdx=1 oIdx=0 buffer=0 iui=0
_ds_load_u8_d16_hi v54, v[vgprLocalReadAddrA] offset:9472 // L -> Reg lro=9216 swapByteOffset=0 ti=32 vIdx=2 rIdx=2 oIdx=0 buffer=0 iui=0
v_mfma_i32_16x16x16i8 a[16+0:19+0], v[vgprValuA_X1_I0+1+0+0], v[vgprValuB_X1_I0+1+0+0], a[16:19]
/*  mfmaIndex:50  */
_ds_load_u8_d16_hi v55, v[vgprLocalReadAddrA] offset:9568 // L -> Reg lro=9216 swapByteOffset=0 ti=32 vIdx=2 rIdx=3 oIdx=0 buffer=0 iui=0
_ds_load_u8 v[vgprValuB_X0_I0+1], v[vgprLocalReadAddrB] offset:9248 // L -> Reg lro=9216 swapByteOffset=0 ti=32 vIdx=1 rIdx=0 oIdx=0 buffer=0 iui=0
_ds_load_u8 v59, v[vgprLocalReadAddrB] offset:9344 // L -> Reg lro=9216 swapByteOffset=0 ti=32 vIdx=1 rIdx=1 oIdx=0 buffer=0 iui=0
v_mfma_i32_16x16x16i8 a[12+0:15+0], v[vgprValuA_X1_I0+0+0+0], v[vgprValuB_X1_I0+1+0+0], a[12:15]
/*  mfmaIndex:51  */
_ds_load_u8_d16_hi v60, v[vgprLocalReadAddrB] offset:9440 // L -> Reg lro=9216 swapByteOffset=0 ti=32 vIdx=1 rIdx=2 oIdx=0 buffer=0 iui=0
_ds_load_u8_d16_hi v61, v[vgprLocalReadAddrB] offset:9536 // L -> Reg lro=9216 swapByteOffset=0 ti=32 vIdx=1 rIdx=3 oIdx=0 buffer=0 iui=0
v_mfma_i32_16x16x16i8 a[24+0:27+0], v[vgprValuA_X1_I0+0+0+0], v[vgprValuB_X1_I0+2+0+0], a[24:27]
/*  mfmaIndex:52  */
_ds_load_u8 v[vgprValuB_X0_I0+2], v[vgprLocalReadAddrB] offset:9280 // L -> Reg lro=9216 swapByteOffset=0 ti=32 vIdx=2 rIdx=0 oIdx=0 buffer=0 iui=0
_ds_load_u8 v62, v[vgprLocalReadAddrB] offset:9376 // L -> Reg lro=9216 swapByteOffset=0 ti=32 vIdx=2 rIdx=1 oIdx=0 buffer=0 iui=0
v_mfma_i32_16x16x16i8 a[28+0:31+0], v[vgprValuA_X1_I0+1+0+0], v[vgprValuB_X1_I0+2+0+0], a[28:31]
/*  mfmaIndex:53  */
_ds_load_u8_d16_hi v63, v[vgprLocalReadAddrB] offset:9472 // L -> Reg lro=9216 swapByteOffset=0 ti=32 vIdx=2 rIdx=2 oIdx=0 buffer=0 iui=0
_ds_load_u8_d16_hi v64, v[vgprLocalReadAddrB] offset:9568 // L -> Reg lro=9216 swapByteOffset=0 ti=32 vIdx=2 rIdx=3 oIdx=0 buffer=0 iui=0
/* localReadsVacancy: latencyLeft 1 */
v_mfma_i32_16x16x16i8 a[32+0:35+0], v[vgprValuA_X1_I0+2+0+0], v[vgprValuB_X1_I0+2+0+0], a[32:35]
/* numPrefetchIter=0 */
/* dataAtIterA=4 numReadsIterA=6 skipReadsIterA=1 readsPerIterA=12 */
/* dataAtIterB=4 numReadsIterB=6 skipReadsIterB=1 readsPerIterB=12 */


/* iter 6 (last unrolled loop) */

/*  grEndMfmaIndex:0, lwStartMfmaIndex:60, lwEndMfmaIndex:60  */
/*  numMfmaForLR:8, barrierMfmaIndex:63 */
/*  mfmaIndex:54  */
_ds_load_u8 v[vgprValuA_X1_I0+0], v[vgprLocalReadAddrA] offset:10752 // L -> Reg lro=10752 swapByteOffset=0 ti=32 vIdx=0 rIdx=0 oIdx=0 buffer=1 iui=0
_ds_load_u8 v65, v[vgprLocalReadAddrA] offset:10848 // L -> Reg lro=10752 swapByteOffset=0 ti=32 vIdx=0 rIdx=1 oIdx=0 buffer=1 iui=0
_ds_load_u8_d16_hi v66, v[vgprLocalReadAddrA] offset:10944 // L -> Reg lro=10752 swapByteOffset=0 ti=32 vIdx=0 rIdx=2 oIdx=0 buffer=1 iui=0
s_waitcnt lgkmcnt(3)                               // lgkmcnt=0 vmcnt=-1wait for prior local read local write old=0, new=3 newLW=0 newLR=3
/* pack scheduling: packAIdx:3, packBIdx:3 */
_v_lshl_or_b32 v[vgprValuA_X0_I0+0], v47, 0x8, v[vgprValuA_X0_I0+0] // pack two int8 Vgpr to one half Vgpr
_v_lshl_or_b32 v48, v49, 0x8, v48                  // pack two int8 Vgpr to one half Vgpr
v_or_b32 v[vgprValuA_X0_I0+0], v[vgprValuA_X0_I0+0], v48 // pack two half Vgpr to one Vgpr
_v_lshl_or_b32 v[vgprValuB_X0_I0+0], v56, 0x8, v[vgprValuB_X0_I0+0] // pack two int8 Vgpr to one half Vgpr
_v_lshl_or_b32 v57, v58, 0x8, v57                  // pack two int8 Vgpr to one half Vgpr
v_or_b32 v[vgprValuB_X0_I0+0], v[vgprValuB_X0_I0+0], v57 // pack two half Vgpr to one Vgpr
_v_lshl_or_b32 v[vgprValuA_X0_I0+1], v50, 0x8, v[vgprValuA_X0_I0+1] // pack two int8 Vgpr to one half Vgpr
_v_lshl_or_b32 v51, v52, 0x8, v51                  // pack two int8 Vgpr to one half Vgpr
v_or_b32 v[vgprValuA_X0_I0+1], v[vgprValuA_X0_I0+1], v51 // pack two half Vgpr to one Vgpr
v_mfma_i32_16x16x16i8 a[0+0:3+0], v[vgprValuA_X0_I0+0+0+0], v[vgprValuB_X0_I0+0+0+0], a[0:3]
/*  mfmaIndex:55  */
_ds_load_u8_d16_hi v67, v[vgprLocalReadAddrA] offset:11040 // L -> Reg lro=10752 swapByteOffset=0 ti=32 vIdx=0 rIdx=3 oIdx=0 buffer=1 iui=0
_ds_load_u8 v[vgprValuB_X1_I0+0], v[vgprLocalReadAddrB] offset:10752 // L -> Reg lro=10752 swapByteOffset=0 ti=32 vIdx=0 rIdx=0 oIdx=0 buffer=1 iui=0
_ds_load_u8 v74, v[vgprLocalReadAddrB] offset:10848 // L -> Reg lro=10752 swapByteOffset=0 ti=32 vIdx=0 rIdx=1 oIdx=0 buffer=1 iui=0
/* pack scheduling: packAIdx:6, packBIdx:3 */
_v_lshl_or_b32 v[vgprValuA_X0_I0+2], v53, 0x8, v[vgprValuA_X0_I0+2] // pack two int8 Vgpr to one half Vgpr
_v_lshl_or_b32 v54, v55, 0x8, v54                  // pack two int8 Vgpr to one half Vgpr
v_or_b32 v[vgprValuA_X0_I0+2], v[vgprValuA_X0_I0+2], v54 // pack two half Vgpr to one Vgpr
_v_lshl_or_b32 v[vgprValuB_X0_I0+1], v59, 0x8, v[vgprValuB_X0_I0+1] // pack two int8 Vgpr to one half Vgpr
_v_lshl_or_b32 v60, v61, 0x8, v60                  // pack two int8 Vgpr to one half Vgpr
v_or_b32 v[vgprValuB_X0_I0+1], v[vgprValuB_X0_I0+1], v60 // pack two half Vgpr to one Vgpr
v_mfma_i32_16x16x16i8 a[4+0:7+0], v[vgprValuA_X0_I0+1+0+0], v[vgprValuB_X0_I0+0+0+0], a[4:7]
/*  mfmaIndex:56  */
_ds_load_u8_d16_hi v75, v[vgprLocalReadAddrB] offset:10944 // L -> Reg lro=10752 swapByteOffset=0 ti=32 vIdx=0 rIdx=2 oIdx=0 buffer=1 iui=0
_ds_load_u8_d16_hi v76, v[vgprLocalReadAddrB] offset:11040 // L -> Reg lro=10752 swapByteOffset=0 ti=32 vIdx=0 rIdx=3 oIdx=0 buffer=1 iui=0
_ds_load_u8 v[vgprValuA_X1_I0+1], v[vgprLocalReadAddrA] offset:10784 // L -> Reg lro=10752 swapByteOffset=0 ti=32 vIdx=1 rIdx=0 oIdx=0 buffer=1 iui=0
/* pack scheduling: packAIdx:9, packBIdx:3 */
_v_lshl_or_b32 v[vgprValuB_X0_I0+2], v62, 0x8, v[vgprValuB_X0_I0+2] // pack two int8 Vgpr to one half Vgpr
_v_lshl_or_b32 v63, v64, 0x8, v63                  // pack two int8 Vgpr to one half Vgpr
v_or_b32 v[vgprValuB_X0_I0+2], v[vgprValuB_X0_I0+2], v63 // pack two half Vgpr to one Vgpr
v_mfma_i32_16x16x16i8 a[8+0:11+0], v[vgprValuA_X0_I0+2+0+0], v[vgprValuB_X0_I0+0+0+0], a[8:11]
/*  mfmaIndex:57  */
_ds_load_u8 v68, v[vgprLocalReadAddrA] offset:10880 // L -> Reg lro=10752 swapByteOffset=0 ti=32 vIdx=1 rIdx=1 oIdx=0 buffer=1 iui=0
_ds_load_u8_d16_hi v69, v[vgprLocalReadAddrA] offset:10976 // L -> Reg lro=10752 swapByteOffset=0 ti=32 vIdx=1 rIdx=2 oIdx=0 buffer=1 iui=0
_ds_load_u8_d16_hi v70, v[vgprLocalReadAddrA] offset:11072 // L -> Reg lro=10752 swapByteOffset=0 ti=32 vIdx=1 rIdx=3 oIdx=0 buffer=1 iui=0
v_mfma_i32_16x16x16i8 a[20+0:23+0], v[vgprValuA_X0_I0+2+0+0], v[vgprValuB_X0_I0+1+0+0], a[20:23]
/*  mfmaIndex:58  */
_ds_load_u8 v[vgprValuA_X1_I0+2], v[vgprLocalReadAddrA] offset:10816 // L -> Reg lro=10752 swapByteOffset=0 ti=32 vIdx=2 rIdx=0 oIdx=0 buffer=1 iui=0
_ds_load_u8 v71, v[vgprLocalReadAddrA] offset:10912 // L -> Reg lro=10752 swapByteOffset=0 ti=32 vIdx=2 rIdx=1 oIdx=0 buffer=1 iui=0
_ds_load_u8_d16_hi v72, v[vgprLocalReadAddrA] offset:11008 // L -> Reg lro=10752 swapByteOffset=0 ti=32 vIdx=2 rIdx=2 oIdx=0 buffer=1 iui=0
v_mfma_i32_16x16x16i8 a[16+0:19+0], v[vgprValuA_X0_I0+1+0+0], v[vgprValuB_X0_I0+1+0+0], a[16:19]
/*  mfmaIndex:59  */
_ds_load_u8_d16_hi v73, v[vgprLocalReadAddrA] offset:11104 // L -> Reg lro=10752 swapByteOffset=0 ti=32 vIdx=2 rIdx=3 oIdx=0 buffer=1 iui=0
_ds_load_u8 v[vgprValuB_X1_I0+1], v[vgprLocalReadAddrB] offset:10784 // L -> Reg lro=10752 swapByteOffset=0 ti=32 vIdx=1 rIdx=0 oIdx=0 buffer=1 iui=0
_ds_load_u8 v77, v[vgprLocalReadAddrB] offset:10880 // L -> Reg lro=10752 swapByteOffset=0 ti=32 vIdx=1 rIdx=1 oIdx=0 buffer=1 iui=0
v_mfma_i32_16x16x16i8 a[12+0:15+0], v[vgprValuA_X0_I0+0+0+0], v[vgprValuB_X0_I0+1+0+0], a[12:15]
/*  mfmaIndex:60  */
_ds_load_u8_d16_hi v78, v[vgprLocalReadAddrB] offset:10976 // L -> Reg lro=10752 swapByteOffset=0 ti=32 vIdx=1 rIdx=2 oIdx=0 buffer=1 iui=0
_ds_load_u8_d16_hi v79, v[vgprLocalReadAddrB] offset:11072 // L -> Reg lro=10752 swapByteOffset=0 ti=32 vIdx=1 rIdx=3 oIdx=0 buffer=1 iui=0
v_mfma_i32_16x16x16i8 a[24+0:27+0], v[vgprValuA_X0_I0+0+0+0], v[vgprValuB_X0_I0+2+0+0], a[24:27]
/*  mfmaIndex:61  */
_ds_load_u8 v[vgprValuB_X1_I0+2], v[vgprLocalReadAddrB] offset:10816 // L -> Reg lro=10752 swapByteOffset=0 ti=32 vIdx=2 rIdx=0 oIdx=0 buffer=1 iui=0
_ds_load_u8 v80, v[vgprLocalReadAddrB] offset:10912 // L -> Reg lro=10752 swapByteOffset=0 ti=32 vIdx=2 rIdx=1 oIdx=0 buffer=1 iui=0
v_mfma_i32_16x16x16i8 a[28+0:31+0], v[vgprValuA_X0_I0+1+0+0], v[vgprValuB_X0_I0+2+0+0], a[28:31]
/*  mfmaIndex:62  */
_ds_load_u8_d16_hi v81, v[vgprLocalReadAddrB] offset:11008 // L -> Reg lro=10752 swapByteOffset=0 ti=32 vIdx=2 rIdx=2 oIdx=0 buffer=1 iui=0
_ds_load_u8_d16_hi v82, v[vgprLocalReadAddrB] offset:11104 // L -> Reg lro=10752 swapByteOffset=0 ti=32 vIdx=2 rIdx=3 oIdx=0 buffer=1 iui=0
/* localReadsVacancy: latencyLeft 1 */
v_mfma_i32_16x16x16i8 a[32+0:35+0], v[vgprValuA_X0_I0+2+0+0], v[vgprValuB_X0_I0+2+0+0], a[32:35]
/* numPrefetchIter=0 */
/* dataAtIterA=5 numReadsIterA=7 skipReadsIterA=1 readsPerIterA=12 */
/* dataAtIterB=5 numReadsIterB=7 skipReadsIterB=1 readsPerIterB=12 */


/* iter 7 (last unrolled loop) */

/*  grEndMfmaIndex:0, lwStartMfmaIndex:60, lwEndMfmaIndex:60  */
/*  numMfmaForLR:8, barrierMfmaIndex:63 */
/*  mfmaIndex:63  */
s_waitcnt lgkmcnt(0)                               // lgkmcnt=0 vmcnt=-1wait for prior local read local write old=0, new=0 newLW=0 newLR=0
/* pack scheduling: packAIdx:3, packBIdx:3 */
_v_lshl_or_b32 v[vgprValuA_X1_I0+0], v65, 0x8, v[vgprValuA_X1_I0+0] // pack two int8 Vgpr to one half Vgpr
_v_lshl_or_b32 v66, v67, 0x8, v66                  // pack two int8 Vgpr to one half Vgpr
v_or_b32 v[vgprValuA_X1_I0+0], v[vgprValuA_X1_I0+0], v66 // pack two half Vgpr to one Vgpr
_v_lshl_or_b32 v[vgprValuB_X1_I0+0], v74, 0x8, v[vgprValuB_X1_I0+0] // pack two int8 Vgpr to one half Vgpr
_v_lshl_or_b32 v75, v76, 0x8, v75                  // pack two int8 Vgpr to one half Vgpr
v_or_b32 v[vgprValuB_X1_I0+0], v[vgprValuB_X1_I0+0], v75 // pack two half Vgpr to one Vgpr
_v_lshl_or_b32 v[vgprValuA_X1_I0+1], v68, 0x8, v[vgprValuA_X1_I0+1] // pack two int8 Vgpr to one half Vgpr
_v_lshl_or_b32 v69, v70, 0x8, v69                  // pack two int8 Vgpr to one half Vgpr
v_or_b32 v[vgprValuA_X1_I0+1], v[vgprValuA_X1_I0+1], v69 // pack two half Vgpr to one Vgpr
v_mfma_i32_16x16x16i8 a[0+0:3+0], v[vgprValuA_X1_I0+0+0+0], v[vgprValuB_X1_I0+0+0+0], a[0:3]
/*  mfmaIndex:64  */
/* pack scheduling: packAIdx:6, packBIdx:3 */
_v_lshl_or_b32 v[vgprValuA_X1_I0+2], v71, 0x8, v[vgprValuA_X1_I0+2] // pack two int8 Vgpr to one half Vgpr
_v_lshl_or_b32 v72, v73, 0x8, v72                  // pack two int8 Vgpr to one half Vgpr
v_or_b32 v[vgprValuA_X1_I0+2], v[vgprValuA_X1_I0+2], v72 // pack two half Vgpr to one Vgpr
_v_lshl_or_b32 v[vgprValuB_X1_I0+1], v77, 0x8, v[vgprValuB_X1_I0+1] // pack two int8 Vgpr to one half Vgpr
_v_lshl_or_b32 v78, v79, 0x8, v78                  // pack two int8 Vgpr to one half Vgpr
v_or_b32 v[vgprValuB_X1_I0+1], v[vgprValuB_X1_I0+1], v78 // pack two half Vgpr to one Vgpr
v_mfma_i32_16x16x16i8 a[4+0:7+0], v[vgprValuA_X1_I0+1+0+0], v[vgprValuB_X1_I0+0+0+0], a[4:7]
/*  mfmaIndex:65  */
/* pack scheduling: packAIdx:9, packBIdx:3 */
_v_lshl_or_b32 v[vgprValuB_X1_I0+2], v80, 0x8, v[vgprValuB_X1_I0+2] // pack two int8 Vgpr to one half Vgpr
_v_lshl_or_b32 v81, v82, 0x8, v81                  // pack two int8 Vgpr to one half Vgpr
v_or_b32 v[vgprValuB_X1_I0+2], v[vgprValuB_X1_I0+2], v81 // pack two half Vgpr to one Vgpr
v_mfma_i32_16x16x16i8 a[8+0:11+0], v[vgprValuA_X1_I0+2+0+0], v[vgprValuB_X1_I0+0+0+0], a[8:11]
/*  mfmaIndex:66  */
v_mfma_i32_16x16x16i8 a[20+0:23+0], v[vgprValuA_X1_I0+2+0+0], v[vgprValuB_X1_I0+1+0+0], a[20:23]
/*  mfmaIndex:67  */
	;; [unrolled: 2-line block ×6, first 2 shown]
v_mfma_i32_16x16x16i8 a[32+0:35+0], v[vgprValuA_X1_I0+2+0+0], v[vgprValuB_X1_I0+2+0+0], a[32:35]
/* numPrefetchIter=0 */
/* dataAtIterA=6 numReadsIterA=7 skipReadsIterA=0 readsPerIterA=12 */
/* dataAtIterB=6 numReadsIterB=7 skipReadsIterB=0 readsPerIterB=12 */

PrefetchGlobalLastIterEnd_5:


/******************************************/
/* Tail Loop                              */
/******************************************/


/* local write reset offsets a */


v_and_b32 v[vgprLocalWriteAddrA], 0xf07fff, v[vgprLocalWriteAddrA] // reset to Red


/* local write reset offsets b */


v_and_b32 v[vgprLocalWriteAddrB], 0xf07fff, v[vgprLocalWriteAddrB] // reset to Red


//numIterL = (((sizeL % LOCAL_DEPTHU) + LOCAL_SPLITU - 1) / LOCAL_SPLITU)
s_and_b32 s[sgprLoopCounterL], 127, s[sgprSizesSum+0] // s[sgprLoopCounterL] = s[sgprSizesSum+0] % 128
s_cmp_eq_u32 s[sgprLoopCounterL], 0x0              // numIterL == 0
s_cbranch_scc1 SkipTailLoopL_8                     // skip to end of tail loop b/c numIter==0
s_mov_b32 s[sgprOrigLoopCounter], 0                // repurpose to count each localRead increment


/* Update M0 for DTLDS */


	;; [unrolled: 1-line block ×3, first 2 shown]
/* global read a */

/* g2l=0, load component 0 */
_buffer_load_b64 v[vgprG2LA+0+0:vgprG2LA+0+0+1], v[vgprGlobalReadOffsetA+0], s[sgprSrdA:sgprSrdA+3], 0, offen offset:0 // load packed 8X buffer value
/* g2l=0, load component 8 */
_buffer_load_b64 v[vgprG2LA+0+2:vgprG2LA+0+2+1], v[vgprGlobalReadOffsetA+0], s[sgprSrdA:sgprSrdA+3], 0, offen offset:8 // load packed 8X buffer value
	;; [unrolled: 2-line block ×6, first 2 shown]


/* Update M0 for DTLDS */


	;; [unrolled: 1-line block ×3, first 2 shown]
/* global read b */

/* g2l=0, load component 0 */
_buffer_load_d16_u8 v[vgprG2LB+0+0], v[vgprGlobalReadOffsetB+0], s[sgprSrdB:sgprSrdB+3], 0, offen offset:0 // load one buffer value
/* g2l=0, load component 1 */
_buffer_load_d16_u8 v47, v[vgprGlobalReadOffsetB+0], s[sgprSrdB:sgprSrdB+3], 0, offen offset:1 // load one buffer value
/* g2l=0, load component 2 */
_buffer_load_d16_hi_u8 v48, v[vgprGlobalReadOffsetB+0], s[sgprSrdB:sgprSrdB+3], 0, offen offset:2 // load one buffer value
/* g2l=0, load component 3 */
_buffer_load_d16_hi_u8 v49, v[vgprGlobalReadOffsetB+0], s[sgprSrdB:sgprSrdB+3], 0, offen offset:3 // load one buffer value
/* g2l=0, load component 4 */
_buffer_load_d16_u8 v[vgprG2LB+0+1], v[vgprGlobalReadOffsetB+0], s[sgprSrdB:sgprSrdB+3], 0, offen offset:4 // load one buffer value
/* g2l=0, load component 5 */
_buffer_load_d16_u8 v51, v[vgprGlobalReadOffsetB+0], s[sgprSrdB:sgprSrdB+3], 0, offen offset:5 // load one buffer value
/* g2l=0, load component 6 */
_buffer_load_d16_hi_u8 v52, v[vgprGlobalReadOffsetB+0], s[sgprSrdB:sgprSrdB+3], 0, offen offset:6 // load one buffer value
/* g2l=0, load component 7 */
_buffer_load_d16_hi_u8 v53, v[vgprGlobalReadOffsetB+0], s[sgprSrdB:sgprSrdB+3], 0, offen offset:7 // load one buffer value
/* g2l=0, load component 8 */
_buffer_load_d16_u8 v[vgprG2LB+0+2], v[vgprGlobalReadOffsetB+0], s[sgprSrdB:sgprSrdB+3], 0, offen offset:8 // load one buffer value
/* g2l=0, load component 9 */
_buffer_load_d16_u8 v55, v[vgprGlobalReadOffsetB+0], s[sgprSrdB:sgprSrdB+3], 0, offen offset:9 // load one buffer value
/* g2l=0, load component 10 */
_buffer_load_d16_hi_u8 v56, v[vgprGlobalReadOffsetB+0], s[sgprSrdB:sgprSrdB+3], 0, offen offset:10 // load one buffer value
/* g2l=0, load component 11 */
_buffer_load_d16_hi_u8 v57, v[vgprGlobalReadOffsetB+0], s[sgprSrdB:sgprSrdB+3], 0, offen offset:11 // load one buffer value
/* g2l=0, load component 12 */
_buffer_load_d16_u8 v[vgprG2LB+0+3], v[vgprGlobalReadOffsetB+0], s[sgprSrdB:sgprSrdB+3], 0, offen offset:12 // load one buffer value
/* g2l=0, load component 13 */
_buffer_load_d16_u8 v59, v[vgprGlobalReadOffsetB+0], s[sgprSrdB:sgprSrdB+3], 0, offen offset:13 // load one buffer value
/* g2l=0, load component 14 */
_buffer_load_d16_hi_u8 v60, v[vgprGlobalReadOffsetB+0], s[sgprSrdB:sgprSrdB+3], 0, offen offset:14 // load one buffer value
/* g2l=0, load component 15 */
_buffer_load_d16_hi_u8 v61, v[vgprGlobalReadOffsetB+0], s[sgprSrdB:sgprSrdB+3], 0, offen offset:15 // load one buffer value
s_waitcnt vmcnt(14)
v_lshlrev_b32 v47, 0x8, v47                        // shift left to higher 8 bits
v_or_b32 v[vgprG2LB+0+0], v[vgprG2LB+0+0], v47     // pack a sub 8-bit with dest
s_waitcnt vmcnt(13)
v_or_b32 v[vgprG2LB+0+0], v[vgprG2LB+0+0], v48     // pack a sub 8-bit with dest
s_waitcnt vmcnt(12)
v_lshlrev_b32 v49, 0x8, v49                        // shift left to higher 8 bits
v_or_b32 v[vgprG2LB+0+0], v[vgprG2LB+0+0], v49     // pack a sub 8-bit with dest
s_waitcnt vmcnt(10)
v_lshlrev_b32 v51, 0x8, v51                        // shift left to higher 8 bits
v_or_b32 v[vgprG2LB+0+1], v[vgprG2LB+0+1], v51     // pack a sub 8-bit with dest
s_waitcnt vmcnt(9)
v_or_b32 v[vgprG2LB+0+1], v[vgprG2LB+0+1], v52     // pack a sub 8-bit with dest
s_waitcnt vmcnt(8)
v_lshlrev_b32 v53, 0x8, v53                        // shift left to higher 8 bits
v_or_b32 v[vgprG2LB+0+1], v[vgprG2LB+0+1], v53     // pack a sub 8-bit with dest
s_waitcnt vmcnt(6)
v_lshlrev_b32 v55, 0x8, v55                        // shift left to higher 8 bits
v_or_b32 v[vgprG2LB+0+2], v[vgprG2LB+0+2], v55     // pack a sub 8-bit with dest
s_waitcnt vmcnt(5)
v_or_b32 v[vgprG2LB+0+2], v[vgprG2LB+0+2], v56     // pack a sub 8-bit with dest
s_waitcnt vmcnt(4)
v_lshlrev_b32 v57, 0x8, v57                        // shift left to higher 8 bits
v_or_b32 v[vgprG2LB+0+2], v[vgprG2LB+0+2], v57     // pack a sub 8-bit with dest
s_waitcnt vmcnt(2)
v_lshlrev_b32 v59, 0x8, v59                        // shift left to higher 8 bits
v_or_b32 v[vgprG2LB+0+3], v[vgprG2LB+0+3], v59     // pack a sub 8-bit with dest
s_waitcnt vmcnt(1)
v_or_b32 v[vgprG2LB+0+3], v[vgprG2LB+0+3], v60     // pack a sub 8-bit with dest
s_waitcnt vmcnt(0)
v_lshlrev_b32 v61, 0x8, v61                        // shift left to higher 8 bits
v_or_b32 v[vgprG2LB+0+3], v[vgprG2LB+0+3], v61     // pack a sub 8-bit with dest
/* g2l=4, load component 0 */
_buffer_load_d16_u8 v[vgprG2LB+4+0], v[vgprGlobalReadOffsetB+1], s[sgprSrdB:sgprSrdB+3], 0, offen offset:0 // load one buffer value
/* g2l=4, load component 1 */
_buffer_load_d16_u8 v47, v[vgprGlobalReadOffsetB+1], s[sgprSrdB:sgprSrdB+3], 0, offen offset:1 // load one buffer value
/* g2l=4, load component 2 */
_buffer_load_d16_hi_u8 v48, v[vgprGlobalReadOffsetB+1], s[sgprSrdB:sgprSrdB+3], 0, offen offset:2 // load one buffer value
/* g2l=4, load component 3 */
_buffer_load_d16_hi_u8 v49, v[vgprGlobalReadOffsetB+1], s[sgprSrdB:sgprSrdB+3], 0, offen offset:3 // load one buffer value
/* g2l=4, load component 4 */
_buffer_load_d16_u8 v[vgprG2LB+4+1], v[vgprGlobalReadOffsetB+1], s[sgprSrdB:sgprSrdB+3], 0, offen offset:4 // load one buffer value
/* g2l=4, load component 5 */
_buffer_load_d16_u8 v51, v[vgprGlobalReadOffsetB+1], s[sgprSrdB:sgprSrdB+3], 0, offen offset:5 // load one buffer value
/* g2l=4, load component 6 */
_buffer_load_d16_hi_u8 v52, v[vgprGlobalReadOffsetB+1], s[sgprSrdB:sgprSrdB+3], 0, offen offset:6 // load one buffer value
/* g2l=4, load component 7 */
_buffer_load_d16_hi_u8 v53, v[vgprGlobalReadOffsetB+1], s[sgprSrdB:sgprSrdB+3], 0, offen offset:7 // load one buffer value
/* g2l=4, load component 8 */
_buffer_load_d16_u8 v[vgprG2LB+4+2], v[vgprGlobalReadOffsetB+1], s[sgprSrdB:sgprSrdB+3], 0, offen offset:8 // load one buffer value
/* g2l=4, load component 9 */
_buffer_load_d16_u8 v55, v[vgprGlobalReadOffsetB+1], s[sgprSrdB:sgprSrdB+3], 0, offen offset:9 // load one buffer value
/* g2l=4, load component 10 */
_buffer_load_d16_hi_u8 v56, v[vgprGlobalReadOffsetB+1], s[sgprSrdB:sgprSrdB+3], 0, offen offset:10 // load one buffer value
/* g2l=4, load component 11 */
_buffer_load_d16_hi_u8 v57, v[vgprGlobalReadOffsetB+1], s[sgprSrdB:sgprSrdB+3], 0, offen offset:11 // load one buffer value
/* g2l=4, load component 12 */
_buffer_load_d16_u8 v[vgprG2LB+4+3], v[vgprGlobalReadOffsetB+1], s[sgprSrdB:sgprSrdB+3], 0, offen offset:12 // load one buffer value
/* g2l=4, load component 13 */
_buffer_load_d16_u8 v59, v[vgprGlobalReadOffsetB+1], s[sgprSrdB:sgprSrdB+3], 0, offen offset:13 // load one buffer value
/* g2l=4, load component 14 */
_buffer_load_d16_hi_u8 v60, v[vgprGlobalReadOffsetB+1], s[sgprSrdB:sgprSrdB+3], 0, offen offset:14 // load one buffer value
/* g2l=4, load component 15 */
_buffer_load_d16_hi_u8 v61, v[vgprGlobalReadOffsetB+1], s[sgprSrdB:sgprSrdB+3], 0, offen offset:15 // load one buffer value
s_waitcnt vmcnt(14)
v_lshlrev_b32 v47, 0x8, v47                        // shift left to higher 8 bits
v_or_b32 v[vgprG2LB+4+0], v[vgprG2LB+4+0], v47     // pack a sub 8-bit with dest
s_waitcnt vmcnt(13)
v_or_b32 v[vgprG2LB+4+0], v[vgprG2LB+4+0], v48     // pack a sub 8-bit with dest
s_waitcnt vmcnt(12)
v_lshlrev_b32 v49, 0x8, v49                        // shift left to higher 8 bits
v_or_b32 v[vgprG2LB+4+0], v[vgprG2LB+4+0], v49     // pack a sub 8-bit with dest
s_waitcnt vmcnt(10)
v_lshlrev_b32 v51, 0x8, v51                        // shift left to higher 8 bits
v_or_b32 v[vgprG2LB+4+1], v[vgprG2LB+4+1], v51     // pack a sub 8-bit with dest
s_waitcnt vmcnt(9)
v_or_b32 v[vgprG2LB+4+1], v[vgprG2LB+4+1], v52     // pack a sub 8-bit with dest
s_waitcnt vmcnt(8)
v_lshlrev_b32 v53, 0x8, v53                        // shift left to higher 8 bits
v_or_b32 v[vgprG2LB+4+1], v[vgprG2LB+4+1], v53     // pack a sub 8-bit with dest
s_waitcnt vmcnt(6)
v_lshlrev_b32 v55, 0x8, v55                        // shift left to higher 8 bits
v_or_b32 v[vgprG2LB+4+2], v[vgprG2LB+4+2], v55     // pack a sub 8-bit with dest
s_waitcnt vmcnt(5)
v_or_b32 v[vgprG2LB+4+2], v[vgprG2LB+4+2], v56     // pack a sub 8-bit with dest
s_waitcnt vmcnt(4)
v_lshlrev_b32 v57, 0x8, v57                        // shift left to higher 8 bits
v_or_b32 v[vgprG2LB+4+2], v[vgprG2LB+4+2], v57     // pack a sub 8-bit with dest
s_waitcnt vmcnt(2)
v_lshlrev_b32 v59, 0x8, v59                        // shift left to higher 8 bits
v_or_b32 v[vgprG2LB+4+3], v[vgprG2LB+4+3], v59     // pack a sub 8-bit with dest
s_waitcnt vmcnt(1)
v_or_b32 v[vgprG2LB+4+3], v[vgprG2LB+4+3], v60     // pack a sub 8-bit with dest
s_waitcnt vmcnt(0)
v_lshlrev_b32 v61, 0x8, v61                        // shift left to higher 8 bits
v_or_b32 v[vgprG2LB+4+3], v[vgprG2LB+4+3], v61     // pack a sub 8-bit with dest
/* g2l=8, load component 0 */
_buffer_load_d16_u8 v[vgprG2LB+8+0], v[vgprGlobalReadOffsetB+2], s[sgprSrdB:sgprSrdB+3], 0, offen offset:0 // load one buffer value
/* g2l=8, load component 1 */
_buffer_load_d16_u8 v47, v[vgprGlobalReadOffsetB+2], s[sgprSrdB:sgprSrdB+3], 0, offen offset:1 // load one buffer value
/* g2l=8, load component 2 */
_buffer_load_d16_hi_u8 v48, v[vgprGlobalReadOffsetB+2], s[sgprSrdB:sgprSrdB+3], 0, offen offset:2 // load one buffer value
/* g2l=8, load component 3 */
_buffer_load_d16_hi_u8 v49, v[vgprGlobalReadOffsetB+2], s[sgprSrdB:sgprSrdB+3], 0, offen offset:3 // load one buffer value
/* g2l=8, load component 4 */
_buffer_load_d16_u8 v[vgprG2LB+8+1], v[vgprGlobalReadOffsetB+2], s[sgprSrdB:sgprSrdB+3], 0, offen offset:4 // load one buffer value
/* g2l=8, load component 5 */
_buffer_load_d16_u8 v51, v[vgprGlobalReadOffsetB+2], s[sgprSrdB:sgprSrdB+3], 0, offen offset:5 // load one buffer value
/* g2l=8, load component 6 */
_buffer_load_d16_hi_u8 v52, v[vgprGlobalReadOffsetB+2], s[sgprSrdB:sgprSrdB+3], 0, offen offset:6 // load one buffer value
/* g2l=8, load component 7 */
_buffer_load_d16_hi_u8 v53, v[vgprGlobalReadOffsetB+2], s[sgprSrdB:sgprSrdB+3], 0, offen offset:7 // load one buffer value
/* g2l=8, load component 8 */
_buffer_load_d16_u8 v[vgprG2LB+8+2], v[vgprGlobalReadOffsetB+2], s[sgprSrdB:sgprSrdB+3], 0, offen offset:8 // load one buffer value
/* g2l=8, load component 9 */
_buffer_load_d16_u8 v55, v[vgprGlobalReadOffsetB+2], s[sgprSrdB:sgprSrdB+3], 0, offen offset:9 // load one buffer value
/* g2l=8, load component 10 */
_buffer_load_d16_hi_u8 v56, v[vgprGlobalReadOffsetB+2], s[sgprSrdB:sgprSrdB+3], 0, offen offset:10 // load one buffer value
/* g2l=8, load component 11 */
_buffer_load_d16_hi_u8 v57, v[vgprGlobalReadOffsetB+2], s[sgprSrdB:sgprSrdB+3], 0, offen offset:11 // load one buffer value
/* g2l=8, load component 12 */
_buffer_load_d16_u8 v[vgprG2LB+8+3], v[vgprGlobalReadOffsetB+2], s[sgprSrdB:sgprSrdB+3], 0, offen offset:12 // load one buffer value
/* g2l=8, load component 13 */
_buffer_load_d16_u8 v59, v[vgprGlobalReadOffsetB+2], s[sgprSrdB:sgprSrdB+3], 0, offen offset:13 // load one buffer value
/* g2l=8, load component 14 */
_buffer_load_d16_hi_u8 v60, v[vgprGlobalReadOffsetB+2], s[sgprSrdB:sgprSrdB+3], 0, offen offset:14 // load one buffer value
/* g2l=8, load component 15 */
_buffer_load_d16_hi_u8 v61, v[vgprGlobalReadOffsetB+2], s[sgprSrdB:sgprSrdB+3], 0, offen offset:15 // load one buffer value
s_waitcnt vmcnt(14)
v_lshlrev_b32 v47, 0x8, v47                        // shift left to higher 8 bits
v_or_b32 v[vgprG2LB+8+0], v[vgprG2LB+8+0], v47     // pack a sub 8-bit with dest
s_waitcnt vmcnt(13)
v_or_b32 v[vgprG2LB+8+0], v[vgprG2LB+8+0], v48     // pack a sub 8-bit with dest
s_waitcnt vmcnt(12)
v_lshlrev_b32 v49, 0x8, v49                        // shift left to higher 8 bits
v_or_b32 v[vgprG2LB+8+0], v[vgprG2LB+8+0], v49     // pack a sub 8-bit with dest
s_waitcnt vmcnt(10)
v_lshlrev_b32 v51, 0x8, v51                        // shift left to higher 8 bits
v_or_b32 v[vgprG2LB+8+1], v[vgprG2LB+8+1], v51     // pack a sub 8-bit with dest
s_waitcnt vmcnt(9)
v_or_b32 v[vgprG2LB+8+1], v[vgprG2LB+8+1], v52     // pack a sub 8-bit with dest
s_waitcnt vmcnt(8)
v_lshlrev_b32 v53, 0x8, v53                        // shift left to higher 8 bits
v_or_b32 v[vgprG2LB+8+1], v[vgprG2LB+8+1], v53     // pack a sub 8-bit with dest
s_waitcnt vmcnt(6)
v_lshlrev_b32 v55, 0x8, v55                        // shift left to higher 8 bits
v_or_b32 v[vgprG2LB+8+2], v[vgprG2LB+8+2], v55     // pack a sub 8-bit with dest
s_waitcnt vmcnt(5)
v_or_b32 v[vgprG2LB+8+2], v[vgprG2LB+8+2], v56     // pack a sub 8-bit with dest
s_waitcnt vmcnt(4)
v_lshlrev_b32 v57, 0x8, v57                        // shift left to higher 8 bits
v_or_b32 v[vgprG2LB+8+2], v[vgprG2LB+8+2], v57     // pack a sub 8-bit with dest
s_waitcnt vmcnt(2)
v_lshlrev_b32 v59, 0x8, v59                        // shift left to higher 8 bits
v_or_b32 v[vgprG2LB+8+3], v[vgprG2LB+8+3], v59     // pack a sub 8-bit with dest
s_waitcnt vmcnt(1)
v_or_b32 v[vgprG2LB+8+3], v[vgprG2LB+8+3], v60     // pack a sub 8-bit with dest
s_waitcnt vmcnt(0)
v_lshlrev_b32 v61, 0x8, v61                        // shift left to higher 8 bits
v_or_b32 v[vgprG2LB+8+3], v[vgprG2LB+8+3], v61     // pack a sub 8-bit with dest

s_waitcnt vmcnt(0)                                 // lgkmcnt=-1 vmcnt=02wait for global read

s_waitcnt lgkmcnt(0) & vmcnt(0)                    // force waitcnt0
s_barrier //


/* Done global A/B reads */


	;; [unrolled: 1-line block ×4, first 2 shown]
/* local write a */

_ds_store_b128 v[vgprLocalWriteAddrA], v[vgprG2LA+0:vgprG2LA+0+3] offset:0 // lwoA_0_0_0_0 = (0*LSCA) + (0*LSPA)(*MT0I+PAD) = 0
_ds_store_b128 v[vgprLocalWriteAddrA], v[vgprG2LA+4:vgprG2LA+4+3] offset:32 // lwoA_1_0_0_0 = (1*LSCA) + (0*LSPA)(*MT0I+PAD) = 32
_ds_store_b128 v[vgprLocalWriteAddrA], v[vgprG2LA+8:vgprG2LA+8+3] offset:64 // lwoA_2_0_0_0 = (2*LSCA) + (0*LSPA)(*MT0I+PAD) = 64


/* local write b */

_ds_store_b128 v[vgprLocalWriteAddrB], v[vgprG2LB+0:vgprG2LB+0+3] offset:0 // lwoB_0_0_0_0 = (0*LSCB) + (0*LSPB)(*MT1J+PAD) = 0
_ds_store_b128 v[vgprLocalWriteAddrB], v[vgprG2LB+4:vgprG2LB+4+3] offset:32 // lwoB_1_0_0_0 = (1*LSCB) + (0*LSPB)(*MT1J+PAD) = 32
_ds_store_b128 v[vgprLocalWriteAddrB], v[vgprG2LB+8:vgprG2LB+8+3] offset:64 // lwoB_2_0_0_0 = (2*LSCB) + (0*LSPB)(*MT1J+PAD) = 64


/* Recalc local read offsets */


s_waitcnt lgkmcnt(0)                               // lgkmcnt=0 vmcnt=-15wait for local write

s_waitcnt lgkmcnt(0) & vmcnt(0)                    // force waitcnt0
s_barrier //


/* local read reset offsets a */


/* localReadResetOffsets */
/* handled internally */
v_and_b32 v[vgprLocalReadAddrA], 0x7fff, v[vgprLocalReadAddrA] // reset Red,Blk -> Red


/* local read reset offsets b */


/* localReadResetOffsets */
/* handled internally */
v_and_b32 v[vgprLocalReadAddrB], 0x7fff, v[vgprLocalReadAddrB] // reset Red,Blk -> Red


/* local read init pointers a */


/* localReadInitPointers */


/* local read init pointers b */


/* localReadInitPointers */


/* tail loop: macs */

TailLoopBeginL_6:


/* local read a */

_ds_load_u8 v[vgprValuA_X0_I0+0], v[vgprLocalReadAddrA] offset:0 // L -> Reg lro=0 swapByteOffset=0 ti=32 vIdx=0 rIdx=0 oIdx=0 buffer=0 iui=0
_ds_load_u8 v47, v[vgprLocalReadAddrA] offset:96   // L -> Reg lro=0 swapByteOffset=0 ti=32 vIdx=0 rIdx=1 oIdx=0 buffer=0 iui=0
_ds_load_u8_d16_hi v48, v[vgprLocalReadAddrA] offset:192 // L -> Reg lro=0 swapByteOffset=0 ti=32 vIdx=0 rIdx=2 oIdx=0 buffer=0 iui=0
_ds_load_u8_d16_hi v49, v[vgprLocalReadAddrA] offset:288 // L -> Reg lro=0 swapByteOffset=0 ti=32 vIdx=0 rIdx=3 oIdx=0 buffer=0 iui=0
_ds_load_u8 v[vgprValuA_X0_I0+1], v[vgprLocalReadAddrA] offset:32 // L -> Reg lro=0 swapByteOffset=0 ti=32 vIdx=1 rIdx=0 oIdx=0 buffer=0 iui=0
_ds_load_u8 v50, v[vgprLocalReadAddrA] offset:128  // L -> Reg lro=0 swapByteOffset=0 ti=32 vIdx=1 rIdx=1 oIdx=0 buffer=0 iui=0
_ds_load_u8_d16_hi v51, v[vgprLocalReadAddrA] offset:224 // L -> Reg lro=0 swapByteOffset=0 ti=32 vIdx=1 rIdx=2 oIdx=0 buffer=0 iui=0
_ds_load_u8_d16_hi v52, v[vgprLocalReadAddrA] offset:320 // L -> Reg lro=0 swapByteOffset=0 ti=32 vIdx=1 rIdx=3 oIdx=0 buffer=0 iui=0
_ds_load_u8 v[vgprValuA_X0_I0+2], v[vgprLocalReadAddrA] offset:64 // L -> Reg lro=0 swapByteOffset=0 ti=32 vIdx=2 rIdx=0 oIdx=0 buffer=0 iui=0
_ds_load_u8 v53, v[vgprLocalReadAddrA] offset:160  // L -> Reg lro=0 swapByteOffset=0 ti=32 vIdx=2 rIdx=1 oIdx=0 buffer=0 iui=0
_ds_load_u8_d16_hi v54, v[vgprLocalReadAddrA] offset:256 // L -> Reg lro=0 swapByteOffset=0 ti=32 vIdx=2 rIdx=2 oIdx=0 buffer=0 iui=0
_ds_load_u8_d16_hi v55, v[vgprLocalReadAddrA] offset:352 // L -> Reg lro=0 swapByteOffset=0 ti=32 vIdx=2 rIdx=3 oIdx=0 buffer=0 iui=0


/* local read b */

_ds_load_u8 v[vgprValuB_X0_I0+0], v[vgprLocalReadAddrB] offset:0 // L -> Reg lro=0 swapByteOffset=0 ti=32 vIdx=0 rIdx=0 oIdx=0 buffer=0 iui=0
_ds_load_u8 v56, v[vgprLocalReadAddrB] offset:96   // L -> Reg lro=0 swapByteOffset=0 ti=32 vIdx=0 rIdx=1 oIdx=0 buffer=0 iui=0
_ds_load_u8_d16_hi v57, v[vgprLocalReadAddrB] offset:192 // L -> Reg lro=0 swapByteOffset=0 ti=32 vIdx=0 rIdx=2 oIdx=0 buffer=0 iui=0
_ds_load_u8_d16_hi v58, v[vgprLocalReadAddrB] offset:288 // L -> Reg lro=0 swapByteOffset=0 ti=32 vIdx=0 rIdx=3 oIdx=0 buffer=0 iui=0
_ds_load_u8 v[vgprValuB_X0_I0+1], v[vgprLocalReadAddrB] offset:32 // L -> Reg lro=0 swapByteOffset=0 ti=32 vIdx=1 rIdx=0 oIdx=0 buffer=0 iui=0
_ds_load_u8 v59, v[vgprLocalReadAddrB] offset:128  // L -> Reg lro=0 swapByteOffset=0 ti=32 vIdx=1 rIdx=1 oIdx=0 buffer=0 iui=0
_ds_load_u8_d16_hi v60, v[vgprLocalReadAddrB] offset:224 // L -> Reg lro=0 swapByteOffset=0 ti=32 vIdx=1 rIdx=2 oIdx=0 buffer=0 iui=0
_ds_load_u8_d16_hi v61, v[vgprLocalReadAddrB] offset:320 // L -> Reg lro=0 swapByteOffset=0 ti=32 vIdx=1 rIdx=3 oIdx=0 buffer=0 iui=0
_ds_load_u8 v[vgprValuB_X0_I0+2], v[vgprLocalReadAddrB] offset:64 // L -> Reg lro=0 swapByteOffset=0 ti=32 vIdx=2 rIdx=0 oIdx=0 buffer=0 iui=0
_ds_load_u8 v62, v[vgprLocalReadAddrB] offset:160  // L -> Reg lro=0 swapByteOffset=0 ti=32 vIdx=2 rIdx=1 oIdx=0 buffer=0 iui=0
_ds_load_u8_d16_hi v63, v[vgprLocalReadAddrB] offset:256 // L -> Reg lro=0 swapByteOffset=0 ti=32 vIdx=2 rIdx=2 oIdx=0 buffer=0 iui=0
_ds_load_u8_d16_hi v64, v[vgprLocalReadAddrB] offset:352 // L -> Reg lro=0 swapByteOffset=0 ti=32 vIdx=2 rIdx=3 oIdx=0 buffer=0 iui=0


/* local read inc a */

s_mov_b32 s31, 0x600                               // inc
_v_add_co_u32 v[vgprLocalReadAddrA], vcc, s31, v[vgprLocalReadAddrA] // lrA += 1536 (LSU*(MT+PAD)*bpe)


/* local read inc b */

s_mov_b32 s31, 0x600                               // inc
_v_add_co_u32 v[vgprLocalReadAddrB], vcc, s31, v[vgprLocalReadAddrB] // lrB += 1536 (LSU*(MT+PAD)*bpe)

s_waitcnt lgkmcnt(0)                               // lgkmcnt=0 vmcnt=-14wait for local read

_v_lshl_or_b32 v[vgprValuA_X0_I0+0], v47, 0x8, v[vgprValuA_X0_I0+0] // pack two int8 Vgpr to one half Vgpr
_v_lshl_or_b32 v48, v49, 0x8, v48                  // pack two int8 Vgpr to one half Vgpr
v_or_b32 v[vgprValuA_X0_I0+0], v[vgprValuA_X0_I0+0], v48 // pack two half Vgpr to one Vgpr
_v_lshl_or_b32 v[vgprValuA_X0_I0+1], v50, 0x8, v[vgprValuA_X0_I0+1] // pack two int8 Vgpr to one half Vgpr
_v_lshl_or_b32 v51, v52, 0x8, v51                  // pack two int8 Vgpr to one half Vgpr
v_or_b32 v[vgprValuA_X0_I0+1], v[vgprValuA_X0_I0+1], v51 // pack two half Vgpr to one Vgpr
	;; [unrolled: 3-line block ×3, first 2 shown]
_v_lshl_or_b32 v[vgprValuB_X0_I0+0], v56, 0x8, v[vgprValuB_X0_I0+0] // pack two int8 Vgpr to one half Vgpr
_v_lshl_or_b32 v57, v58, 0x8, v57                  // pack two int8 Vgpr to one half Vgpr
v_or_b32 v[vgprValuB_X0_I0+0], v[vgprValuB_X0_I0+0], v57 // pack two half Vgpr to one Vgpr
_v_lshl_or_b32 v[vgprValuB_X0_I0+1], v59, 0x8, v[vgprValuB_X0_I0+1] // pack two int8 Vgpr to one half Vgpr
_v_lshl_or_b32 v60, v61, 0x8, v60                  // pack two int8 Vgpr to one half Vgpr
v_or_b32 v[vgprValuB_X0_I0+1], v[vgprValuB_X0_I0+1], v60 // pack two half Vgpr to one Vgpr
	;; [unrolled: 3-line block ×3, first 2 shown]

s_nop 1
v_mfma_i32_16x16x16i8 a[0+0:3+0], v[vgprValuA_X0_I0+0+0+0], v[vgprValuB_X0_I0+0+0+0], a[0:3]
v_mfma_i32_16x16x16i8 a[4+0:7+0], v[vgprValuA_X0_I0+1+0+0], v[vgprValuB_X0_I0+0+0+0], a[4:7]
	;; [unrolled: 1-line block ×9, first 2 shown]


/* closeLoop loopL finalLoop=1 tailLoop=1 */
s_sub_i32 s[sgprLoopCounterL], s[sgprLoopCounterL], 0x10 // dec counterL (tailLoop)
s_add_u32 s[sgprOrigLoopCounter], s[sgprOrigLoopCounter], 0x10 // inc counterL
s_cmp_le_i32 s[sgprLoopCounterL], 0x0              // counterL<=0
s_cbranch_scc0 TailLoopBeginL_6                    // restart LoopL
TailLoopEndL_7:

SkipTailLoopL_8:

Summation_End_28:
/* endSummation: add vgpr [0...44) to pool */

/* Mapping of Acc register -> C Vgpr register */


/* shift vector components d0 */

v_mov_b32 v1, s[sgprWorkGroup0]                    // 
v_mul_i32_i24 v1, -0x60, v1                        // wg*MT
_v_add_co_u32 v1, vcc, s[sgprSizesFree+0], v1      // wgMT = Size - wg*MT
v_mov_b32 v2, 0x60                                 // MT
v_min_u32 v1, v2, v1                               // wgMT = (wgMT < MT) ? wgMT : MT
v_lshrrev_b32 v0, 6, v[vgprSerial]                 // v0 = v[vgprSerial] / 64
v_and_b32 v3, 1, v0                                // v3 = v0 % 2
v_lshrrev_b32 v0, 4, v1                            // v0 = v1 / 16
v_and_b32 v4, 1, v0                                // v4 = v0 % 2
v_cmp_eq_u32 s[32:33], v4, v3                      // wave_id == block_belong_to_wave?
v_cndmask_b32 v1, v2, v1, s[32:33]                 // wgMT = (wgMT < MT) ? wgMT : MT

/* mbReg: which mb block need to shift, mb(matrixInstCoal(16) * VectorWidth(1)) */
v_lshrrev_b32 v2, 4, v1                            // v2 = v1 / 16
v_lshlrev_b32 v4, 0x0, v3                          // v4 = v3 * 1
_v_sub_u32 v2, v2, v4                              // 

/* gbReg: glvw block id */
v_lshrrev_b32 v4, 4, v1                            // v4 = v1 / 16

/* tgbReg: glvw block id */
v_lshrrev_b32 v0, 4, v[vgprSerial]                 // v0 = v[vgprSerial] / 16
v_and_b32 v5, 3, v0                                // v5 = v0 % 4
v_lshlrev_b32 v5, 0x2, v5                          // v5 = v5 * 4
v_lshrrev_b32 v5, 4, v5                            // v5 = v5 / 16
                                                   // v3 = v3 * 1 (multiplier is 1, do nothing)
_v_add_co_u32 v5, vcc, v3, v5                      // tgbReg = (tid_coal * continOut) / GLVW
_v_sub_u32 v4, v4, v5                              // 

/* vwReg: glvw in which vw block? */
v_and_b32 v3, 3, v1                                // permute register between threads
v_lshrrev_b32 v3, 4, v3                            // permute register between threads

/* rReg : reminder of M_size % GlobalLoadVectorWidth */
v_and_b32 v5, 15, v1                               // v5 = v1 % 16
v_cmp_eq_u32 vcc, v5, 0x1                          // wgMT%VW == 1
s_cbranch_vccnz label_0029                         // branch to shift d0 r=1
v_cmp_eq_u32 vcc, v5, 0x2                          // wgMT%VW == 2
s_cbranch_vccnz label_0036                         // branch to shift d0 r=2
v_cmp_eq_u32 vcc, v5, 0x3                          // wgMT%VW == 3
s_cbranch_vccnz label_0043                         // branch to shift d0 r=3
v_cmp_eq_u32 vcc, v5, 0x4                          // wgMT%VW == 4
s_cbranch_vccnz label_0050                         // branch to shift d0 r=4
v_cmp_eq_u32 vcc, v5, 0x5                          // wgMT%VW == 5
s_cbranch_vccnz label_0057                         // branch to shift d0 r=5
v_cmp_eq_u32 vcc, v5, 0x6                          // wgMT%VW == 6
s_cbranch_vccnz label_0064                         // branch to shift d0 r=6
v_cmp_eq_u32 vcc, v5, 0x7                          // wgMT%VW == 7
s_cbranch_vccnz label_0071                         // branch to shift d0 r=7
v_cmp_eq_u32 vcc, v5, 0x8                          // wgMT%VW == 8
s_cbranch_vccnz label_0078                         // branch to shift d0 r=8
v_cmp_eq_u32 vcc, v5, 0x9                          // wgMT%VW == 9
s_cbranch_vccnz label_0085                         // branch to shift d0 r=9
v_cmp_eq_u32 vcc, v5, 0xa                          // wgMT%VW == 10
s_cbranch_vccnz label_0092                         // branch to shift d0 r=10
v_cmp_eq_u32 vcc, v5, 0xb                          // wgMT%VW == 11
s_cbranch_vccnz label_0099                         // branch to shift d0 r=11
v_cmp_eq_u32 vcc, v5, 0xc                          // wgMT%VW == 12
s_cbranch_vccnz label_0106                         // branch to shift d0 r=12
v_cmp_eq_u32 vcc, v5, 0xd                          // wgMT%VW == 13
s_cbranch_vccnz label_0113                         // branch to shift d0 r=13
v_cmp_eq_u32 vcc, v5, 0xe                          // wgMT%VW == 14
s_cbranch_vccnz label_0120                         // branch to shift d0 r=14
v_cmp_eq_u32 vcc, v5, 0xf                          // wgMT%VW == 15
s_cbranch_vccnz label_0127                         // branch to shift d0 r=15
s_branch label_0134                                // no shifting

/******************************************/
/* shift d0 r=1                           */
/******************************************/
label_0029:
v_cmp_eq_u32 vcc, v2, 0x0                          // 
s_cbranch_vccnz label_0030                         // branch to shift d0 r1 mb0
v_cmp_eq_u32 vcc, v2, 0x2                          // 
s_cbranch_vccnz label_0032                         // branch to shift d0 r1 mb1
v_cmp_eq_u32 vcc, v2, 0x4                          // 
s_cbranch_vccnz label_0034                         // branch to shift d0 r1 mb2

/******************************************/
/* shift d0 r=2                           */
/******************************************/
label_0036:
v_cmp_eq_u32 vcc, v2, 0x0                          // 
s_cbranch_vccnz label_0037                         // branch to shift d0 r2 mb0
v_cmp_eq_u32 vcc, v2, 0x2                          // 
s_cbranch_vccnz label_0039                         // branch to shift d0 r2 mb1
v_cmp_eq_u32 vcc, v2, 0x4                          // 
s_cbranch_vccnz label_0041                         // branch to shift d0 r2 mb2

/******************************************/
/* shift d0 r=3                           */
/******************************************/
label_0043:
v_cmp_eq_u32 vcc, v2, 0x0                          // 
s_cbranch_vccnz label_0044                         // branch to shift d0 r3 mb0
v_cmp_eq_u32 vcc, v2, 0x2                          // 
s_cbranch_vccnz label_0046                         // branch to shift d0 r3 mb1
v_cmp_eq_u32 vcc, v2, 0x4                          // 
s_cbranch_vccnz label_0048                         // branch to shift d0 r3 mb2

/******************************************/
/* shift d0 r=4                           */
/******************************************/
label_0050:
v_cmp_eq_u32 vcc, v2, 0x0                          // 
s_cbranch_vccnz label_0051                         // branch to shift d0 r4 mb0
v_cmp_eq_u32 vcc, v2, 0x2                          // 
s_cbranch_vccnz label_0053                         // branch to shift d0 r4 mb1
v_cmp_eq_u32 vcc, v2, 0x4                          // 
s_cbranch_vccnz label_0055                         // branch to shift d0 r4 mb2

/******************************************/
/* shift d0 r=5                           */
/******************************************/
label_0057:
v_cmp_eq_u32 vcc, v2, 0x0                          // 
s_cbranch_vccnz label_0058                         // branch to shift d0 r5 mb0
v_cmp_eq_u32 vcc, v2, 0x2                          // 
s_cbranch_vccnz label_0060                         // branch to shift d0 r5 mb1
v_cmp_eq_u32 vcc, v2, 0x4                          // 
s_cbranch_vccnz label_0062                         // branch to shift d0 r5 mb2

/******************************************/
/* shift d0 r=6                           */
/******************************************/
label_0064:
v_cmp_eq_u32 vcc, v2, 0x0                          // 
s_cbranch_vccnz label_0065                         // branch to shift d0 r6 mb0
v_cmp_eq_u32 vcc, v2, 0x2                          // 
s_cbranch_vccnz label_0067                         // branch to shift d0 r6 mb1
v_cmp_eq_u32 vcc, v2, 0x4                          // 
s_cbranch_vccnz label_0069                         // branch to shift d0 r6 mb2

/******************************************/
/* shift d0 r=7                           */
/******************************************/
label_0071:
v_cmp_eq_u32 vcc, v2, 0x0                          // 
s_cbranch_vccnz label_0072                         // branch to shift d0 r7 mb0
v_cmp_eq_u32 vcc, v2, 0x2                          // 
s_cbranch_vccnz label_0074                         // branch to shift d0 r7 mb1
v_cmp_eq_u32 vcc, v2, 0x4                          // 
s_cbranch_vccnz label_0076                         // branch to shift d0 r7 mb2

/******************************************/
/* shift d0 r=8                           */
/******************************************/
label_0078:
v_cmp_eq_u32 vcc, v2, 0x0                          // 
s_cbranch_vccnz label_0079                         // branch to shift d0 r8 mb0
v_cmp_eq_u32 vcc, v2, 0x2                          // 
s_cbranch_vccnz label_0081                         // branch to shift d0 r8 mb1
v_cmp_eq_u32 vcc, v2, 0x4                          // 
s_cbranch_vccnz label_0083                         // branch to shift d0 r8 mb2

/******************************************/
/* shift d0 r=9                           */
/******************************************/
label_0085:
v_cmp_eq_u32 vcc, v2, 0x0                          // 
s_cbranch_vccnz label_0086                         // branch to shift d0 r9 mb0
v_cmp_eq_u32 vcc, v2, 0x2                          // 
s_cbranch_vccnz label_0088                         // branch to shift d0 r9 mb1
v_cmp_eq_u32 vcc, v2, 0x4                          // 
s_cbranch_vccnz label_0090                         // branch to shift d0 r9 mb2

/******************************************/
/* shift d0 r=10                          */
/******************************************/
label_0092:
v_cmp_eq_u32 vcc, v2, 0x0                          // 
s_cbranch_vccnz label_0093                         // branch to shift d0 r10 mb0
v_cmp_eq_u32 vcc, v2, 0x2                          // 
s_cbranch_vccnz label_0095                         // branch to shift d0 r10 mb1
v_cmp_eq_u32 vcc, v2, 0x4                          // 
s_cbranch_vccnz label_0097                         // branch to shift d0 r10 mb2

/******************************************/
/* shift d0 r=11                          */
/******************************************/
label_0099:
v_cmp_eq_u32 vcc, v2, 0x0                          // 
s_cbranch_vccnz label_0100                         // branch to shift d0 r11 mb0
v_cmp_eq_u32 vcc, v2, 0x2                          // 
s_cbranch_vccnz label_0102                         // branch to shift d0 r11 mb1
v_cmp_eq_u32 vcc, v2, 0x4                          // 
s_cbranch_vccnz label_0104                         // branch to shift d0 r11 mb2

/******************************************/
/* shift d0 r=12                          */
/******************************************/
label_0106:
v_cmp_eq_u32 vcc, v2, 0x0                          // 
s_cbranch_vccnz label_0107                         // branch to shift d0 r12 mb0
v_cmp_eq_u32 vcc, v2, 0x2                          // 
s_cbranch_vccnz label_0109                         // branch to shift d0 r12 mb1
v_cmp_eq_u32 vcc, v2, 0x4                          // 
s_cbranch_vccnz label_0111                         // branch to shift d0 r12 mb2

/******************************************/
/* shift d0 r=13                          */
/******************************************/
label_0113:
v_cmp_eq_u32 vcc, v2, 0x0                          // 
s_cbranch_vccnz label_0114                         // branch to shift d0 r13 mb0
v_cmp_eq_u32 vcc, v2, 0x2                          // 
s_cbranch_vccnz label_0116                         // branch to shift d0 r13 mb1
v_cmp_eq_u32 vcc, v2, 0x4                          // 
s_cbranch_vccnz label_0118                         // branch to shift d0 r13 mb2

/******************************************/
/* shift d0 r=14                          */
/******************************************/
label_0120:
v_cmp_eq_u32 vcc, v2, 0x0                          // 
s_cbranch_vccnz label_0121                         // branch to shift d0 r14 mb0
v_cmp_eq_u32 vcc, v2, 0x2                          // 
s_cbranch_vccnz label_0123                         // branch to shift d0 r14 mb1
v_cmp_eq_u32 vcc, v2, 0x4                          // 
s_cbranch_vccnz label_0125                         // branch to shift d0 r14 mb2

/******************************************/
/* shift d0 r=15                          */
/******************************************/
label_0127:
v_cmp_eq_u32 vcc, v2, 0x0                          // 
s_cbranch_vccnz label_0128                         // branch to shift d0 r15 mb0
v_cmp_eq_u32 vcc, v2, 0x2                          // 
s_cbranch_vccnz label_0130                         // branch to shift d0 r15 mb1
v_cmp_eq_u32 vcc, v2, 0x4                          // 
s_cbranch_vccnz label_0132                         // branch to shift d0 r15 mb2

/******************************************/
/* shift d0 r=1 mb=0                      */
/******************************************/
label_0030: // r1 mb0 
v_cmp_eq_u32 vcc, v3, 0x0                          // 
s_cbranch_vccnz label_0031                         // branch to shift d0 r1 mb0 vw0

/******************************************/
/* shift d0 r=1 mb=1                      */
/******************************************/
label_0032: // r1 mb1 
v_cmp_eq_u32 vcc, v3, 0x0                          // 
s_cbranch_vccnz label_0033                         // branch to shift d0 r1 mb1 vw0

/******************************************/
/* shift d0 r=1 mb=2                      */
/******************************************/
label_0034: // r1 mb2 
v_cmp_eq_u32 vcc, v3, 0x0                          // 
s_cbranch_vccnz label_0035                         // branch to shift d0 r1 mb2 vw0

/******************************************/
/* shift d0 r=2 mb=0                      */
/******************************************/
label_0037: // r2 mb0 
v_cmp_eq_u32 vcc, v3, 0x0                          // 
s_cbranch_vccnz label_0038                         // branch to shift d0 r2 mb0 vw0

/******************************************/
/* shift d0 r=2 mb=1                      */
/******************************************/
label_0039: // r2 mb1 
v_cmp_eq_u32 vcc, v3, 0x0                          // 
s_cbranch_vccnz label_0040                         // branch to shift d0 r2 mb1 vw0

/******************************************/
/* shift d0 r=2 mb=2                      */
/******************************************/
label_0041: // r2 mb2 
v_cmp_eq_u32 vcc, v3, 0x0                          // 
s_cbranch_vccnz label_0042                         // branch to shift d0 r2 mb2 vw0

/******************************************/
/* shift d0 r=3 mb=0                      */
/******************************************/
label_0044: // r3 mb0 
v_cmp_eq_u32 vcc, v3, 0x0                          // 
s_cbranch_vccnz label_0045                         // branch to shift d0 r3 mb0 vw0

/******************************************/
/* shift d0 r=3 mb=1                      */
/******************************************/
label_0046: // r3 mb1 
v_cmp_eq_u32 vcc, v3, 0x0                          // 
s_cbranch_vccnz label_0047                         // branch to shift d0 r3 mb1 vw0

/******************************************/
/* shift d0 r=3 mb=2                      */
/******************************************/
label_0048: // r3 mb2 
v_cmp_eq_u32 vcc, v3, 0x0                          // 
s_cbranch_vccnz label_0049                         // branch to shift d0 r3 mb2 vw0

/******************************************/
/* shift d0 r=4 mb=0                      */
/******************************************/
label_0051: // r4 mb0 
v_cmp_eq_u32 vcc, v3, 0x0                          // 
s_cbranch_vccnz label_0052                         // branch to shift d0 r4 mb0 vw0

/******************************************/
/* shift d0 r=4 mb=1                      */
/******************************************/
label_0053: // r4 mb1 
v_cmp_eq_u32 vcc, v3, 0x0                          // 
s_cbranch_vccnz label_0054                         // branch to shift d0 r4 mb1 vw0

/******************************************/
/* shift d0 r=4 mb=2                      */
/******************************************/
label_0055: // r4 mb2 
v_cmp_eq_u32 vcc, v3, 0x0                          // 
s_cbranch_vccnz label_0056                         // branch to shift d0 r4 mb2 vw0

/******************************************/
/* shift d0 r=5 mb=0                      */
/******************************************/
label_0058: // r5 mb0 
v_cmp_eq_u32 vcc, v3, 0x0                          // 
s_cbranch_vccnz label_0059                         // branch to shift d0 r5 mb0 vw0

/******************************************/
/* shift d0 r=5 mb=1                      */
/******************************************/
label_0060: // r5 mb1 
v_cmp_eq_u32 vcc, v3, 0x0                          // 
s_cbranch_vccnz label_0061                         // branch to shift d0 r5 mb1 vw0

/******************************************/
/* shift d0 r=5 mb=2                      */
/******************************************/
label_0062: // r5 mb2 
v_cmp_eq_u32 vcc, v3, 0x0                          // 
s_cbranch_vccnz label_0063                         // branch to shift d0 r5 mb2 vw0

/******************************************/
/* shift d0 r=6 mb=0                      */
/******************************************/
label_0065: // r6 mb0 
v_cmp_eq_u32 vcc, v3, 0x0                          // 
s_cbranch_vccnz label_0066                         // branch to shift d0 r6 mb0 vw0

/******************************************/
/* shift d0 r=6 mb=1                      */
/******************************************/
label_0067: // r6 mb1 
v_cmp_eq_u32 vcc, v3, 0x0                          // 
s_cbranch_vccnz label_0068                         // branch to shift d0 r6 mb1 vw0

/******************************************/
/* shift d0 r=6 mb=2                      */
/******************************************/
label_0069: // r6 mb2 
v_cmp_eq_u32 vcc, v3, 0x0                          // 
s_cbranch_vccnz label_0070                         // branch to shift d0 r6 mb2 vw0

/******************************************/
/* shift d0 r=7 mb=0                      */
/******************************************/
label_0072: // r7 mb0 
v_cmp_eq_u32 vcc, v3, 0x0                          // 
s_cbranch_vccnz label_0073                         // branch to shift d0 r7 mb0 vw0

/******************************************/
/* shift d0 r=7 mb=1                      */
/******************************************/
label_0074: // r7 mb1 
v_cmp_eq_u32 vcc, v3, 0x0                          // 
s_cbranch_vccnz label_0075                         // branch to shift d0 r7 mb1 vw0

/******************************************/
/* shift d0 r=7 mb=2                      */
/******************************************/
label_0076: // r7 mb2 
v_cmp_eq_u32 vcc, v3, 0x0                          // 
s_cbranch_vccnz label_0077                         // branch to shift d0 r7 mb2 vw0

/******************************************/
/* shift d0 r=8 mb=0                      */
/******************************************/
label_0079: // r8 mb0 
v_cmp_eq_u32 vcc, v3, 0x0                          // 
s_cbranch_vccnz label_0080                         // branch to shift d0 r8 mb0 vw0

/******************************************/
/* shift d0 r=8 mb=1                      */
/******************************************/
label_0081: // r8 mb1 
v_cmp_eq_u32 vcc, v3, 0x0                          // 
s_cbranch_vccnz label_0082                         // branch to shift d0 r8 mb1 vw0

/******************************************/
/* shift d0 r=8 mb=2                      */
/******************************************/
label_0083: // r8 mb2 
v_cmp_eq_u32 vcc, v3, 0x0                          // 
s_cbranch_vccnz label_0084                         // branch to shift d0 r8 mb2 vw0

/******************************************/
/* shift d0 r=9 mb=0                      */
/******************************************/
label_0086: // r9 mb0 
v_cmp_eq_u32 vcc, v3, 0x0                          // 
s_cbranch_vccnz label_0087                         // branch to shift d0 r9 mb0 vw0

/******************************************/
/* shift d0 r=9 mb=1                      */
/******************************************/
label_0088: // r9 mb1 
v_cmp_eq_u32 vcc, v3, 0x0                          // 
s_cbranch_vccnz label_0089                         // branch to shift d0 r9 mb1 vw0

/******************************************/
/* shift d0 r=9 mb=2                      */
/******************************************/
label_0090: // r9 mb2 
v_cmp_eq_u32 vcc, v3, 0x0                          // 
s_cbranch_vccnz label_0091                         // branch to shift d0 r9 mb2 vw0

/******************************************/
/* shift d0 r=10 mb=0                     */
/******************************************/
label_0093: // r10 mb0 
v_cmp_eq_u32 vcc, v3, 0x0                          // 
s_cbranch_vccnz label_0094                         // branch to shift d0 r10 mb0 vw0

/******************************************/
/* shift d0 r=10 mb=1                     */
/******************************************/
label_0095: // r10 mb1 
v_cmp_eq_u32 vcc, v3, 0x0                          // 
s_cbranch_vccnz label_0096                         // branch to shift d0 r10 mb1 vw0

/******************************************/
/* shift d0 r=10 mb=2                     */
/******************************************/
label_0097: // r10 mb2 
v_cmp_eq_u32 vcc, v3, 0x0                          // 
s_cbranch_vccnz label_0098                         // branch to shift d0 r10 mb2 vw0

/******************************************/
/* shift d0 r=11 mb=0                     */
/******************************************/
label_0100: // r11 mb0 
v_cmp_eq_u32 vcc, v3, 0x0                          // 
s_cbranch_vccnz label_0101                         // branch to shift d0 r11 mb0 vw0

/******************************************/
/* shift d0 r=11 mb=1                     */
/******************************************/
label_0102: // r11 mb1 
v_cmp_eq_u32 vcc, v3, 0x0                          // 
s_cbranch_vccnz label_0103                         // branch to shift d0 r11 mb1 vw0

/******************************************/
/* shift d0 r=11 mb=2                     */
/******************************************/
label_0104: // r11 mb2 
v_cmp_eq_u32 vcc, v3, 0x0                          // 
s_cbranch_vccnz label_0105                         // branch to shift d0 r11 mb2 vw0

/******************************************/
/* shift d0 r=12 mb=0                     */
/******************************************/
label_0107: // r12 mb0 
v_cmp_eq_u32 vcc, v3, 0x0                          // 
s_cbranch_vccnz label_0108                         // branch to shift d0 r12 mb0 vw0

/******************************************/
/* shift d0 r=12 mb=1                     */
/******************************************/
label_0109: // r12 mb1 
v_cmp_eq_u32 vcc, v3, 0x0                          // 
s_cbranch_vccnz label_0110                         // branch to shift d0 r12 mb1 vw0

/******************************************/
/* shift d0 r=12 mb=2                     */
/******************************************/
label_0111: // r12 mb2 
v_cmp_eq_u32 vcc, v3, 0x0                          // 
s_cbranch_vccnz label_0112                         // branch to shift d0 r12 mb2 vw0

/******************************************/
/* shift d0 r=13 mb=0                     */
/******************************************/
label_0114: // r13 mb0 
v_cmp_eq_u32 vcc, v3, 0x0                          // 
s_cbranch_vccnz label_0115                         // branch to shift d0 r13 mb0 vw0

/******************************************/
/* shift d0 r=13 mb=1                     */
/******************************************/
label_0116: // r13 mb1 
v_cmp_eq_u32 vcc, v3, 0x0                          // 
s_cbranch_vccnz label_0117                         // branch to shift d0 r13 mb1 vw0

/******************************************/
/* shift d0 r=13 mb=2                     */
/******************************************/
label_0118: // r13 mb2 
v_cmp_eq_u32 vcc, v3, 0x0                          // 
s_cbranch_vccnz label_0119                         // branch to shift d0 r13 mb2 vw0

/******************************************/
/* shift d0 r=14 mb=0                     */
/******************************************/
label_0121: // r14 mb0 
v_cmp_eq_u32 vcc, v3, 0x0                          // 
s_cbranch_vccnz label_0122                         // branch to shift d0 r14 mb0 vw0

/******************************************/
/* shift d0 r=14 mb=1                     */
/******************************************/
label_0123: // r14 mb1 
v_cmp_eq_u32 vcc, v3, 0x0                          // 
s_cbranch_vccnz label_0124                         // branch to shift d0 r14 mb1 vw0

/******************************************/
/* shift d0 r=14 mb=2                     */
/******************************************/
label_0125: // r14 mb2 
v_cmp_eq_u32 vcc, v3, 0x0                          // 
s_cbranch_vccnz label_0126                         // branch to shift d0 r14 mb2 vw0

/******************************************/
/* shift d0 r=15 mb=0                     */
/******************************************/
label_0128: // r15 mb0 
v_cmp_eq_u32 vcc, v3, 0x0                          // 
s_cbranch_vccnz label_0129                         // branch to shift d0 r15 mb0 vw0

/******************************************/
/* shift d0 r=15 mb=1                     */
/******************************************/
label_0130: // r15 mb1 
v_cmp_eq_u32 vcc, v3, 0x0                          // 
s_cbranch_vccnz label_0131                         // branch to shift d0 r15 mb1 vw0

/******************************************/
/* shift d0 r=15 mb=2                     */
/******************************************/
label_0132: // r15 mb2 
v_cmp_eq_u32 vcc, v3, 0x0                          // 
s_cbranch_vccnz label_0133                         // branch to shift d0 r15 mb2 vw0

/******************************************/
/* shift d0 r=1 mb=0 vw0                  */
/******************************************/
label_0031: // r1 mb0 vw0 
s_mov_b32 s32, 0                                   // 
_v_cmpx_eq_u32 s[32:33], v4, s32                   // is thread in edge glvw region
v_and_b32 v0, 63, v[vgprSerial]                    // permute register between threads
v_lshlrev_b32 v0, 2, v0                            // permute register between threads
v_accvgpr_read_b32 v5, acc3                        // glvw 1 mb 0 tt1 0 r 0
s_nop 1                                            // v_accvgpr read vgpr after write vgpr: 2 wait states
ds_bpermute_b32 v5, v0, v5, offset:192             // permute edge values
s_waitcnt 0                                        // wait for swizzle operation
v_accvgpr_write_b32 acc0, v5                       // 
v_accvgpr_read_b32 v5, acc15                       // glvw 1 mb 0 tt1 1 r 0
s_nop 1                                            // v_accvgpr read vgpr after write vgpr: 2 wait states
ds_bpermute_b32 v5, v0, v5, offset:192             // permute edge values
s_waitcnt 0                                        // wait for swizzle operation
v_accvgpr_write_b32 acc12, v5                      // 
v_accvgpr_read_b32 v5, acc27                       // glvw 1 mb 0 tt1 2 r 0
s_nop 1                                            // v_accvgpr read vgpr after write vgpr: 2 wait states
ds_bpermute_b32 v5, v0, v5, offset:192             // permute edge values
s_waitcnt 0                                        // wait for swizzle operation
v_accvgpr_write_b32 acc24, v5                      // 
s_mov_b64 s[32:33], 0xFFFFFFFFFFFFFFFF             // to restore all threads active
s_or_saveexec_b64 vcc, s[32:33]                    // all threads active
s_branch label_0134                                // done shifting


/******************************************/
/* shift d0 r=1 mb=1 vw0                  */
/******************************************/
label_0033: // r1 mb1 vw0 
s_mov_b32 s32, 2                                   // 
_v_cmpx_eq_u32 s[32:33], v4, s32                   // is thread in edge glvw region
v_and_b32 v0, 63, v[vgprSerial]                    // permute register between threads
v_lshlrev_b32 v0, 2, v0                            // permute register between threads
v_accvgpr_read_b32 v5, acc7                        // glvw 1 mb 1 tt1 0 r 0
s_nop 1                                            // v_accvgpr read vgpr after write vgpr: 2 wait states
ds_bpermute_b32 v5, v0, v5, offset:192             // permute edge values
s_waitcnt 0                                        // wait for swizzle operation
v_accvgpr_write_b32 acc4, v5                       // 
v_accvgpr_read_b32 v5, acc19                       // glvw 1 mb 1 tt1 1 r 0
s_nop 1                                            // v_accvgpr read vgpr after write vgpr: 2 wait states
ds_bpermute_b32 v5, v0, v5, offset:192             // permute edge values
s_waitcnt 0                                        // wait for swizzle operation
v_accvgpr_write_b32 acc16, v5                      // 
v_accvgpr_read_b32 v5, acc31                       // glvw 1 mb 1 tt1 2 r 0
s_nop 1                                            // v_accvgpr read vgpr after write vgpr: 2 wait states
ds_bpermute_b32 v5, v0, v5, offset:192             // permute edge values
s_waitcnt 0                                        // wait for swizzle operation
v_accvgpr_write_b32 acc28, v5                      // 
s_mov_b64 s[32:33], 0xFFFFFFFFFFFFFFFF             // to restore all threads active
s_or_saveexec_b64 vcc, s[32:33]                    // all threads active
s_branch label_0134                                // done shifting


/******************************************/
/* shift d0 r=1 mb=2 vw0                  */
/******************************************/
label_0035: // r1 mb2 vw0 
s_mov_b32 s32, 4                                   // 
_v_cmpx_eq_u32 s[32:33], v4, s32                   // is thread in edge glvw region
v_and_b32 v0, 63, v[vgprSerial]                    // permute register between threads
v_lshlrev_b32 v0, 2, v0                            // permute register between threads
v_accvgpr_read_b32 v5, acc11                       // glvw 1 mb 2 tt1 0 r 0
s_nop 1                                            // v_accvgpr read vgpr after write vgpr: 2 wait states
ds_bpermute_b32 v5, v0, v5, offset:192             // permute edge values
s_waitcnt 0                                        // wait for swizzle operation
v_accvgpr_write_b32 acc8, v5                       // 
v_accvgpr_read_b32 v5, acc23                       // glvw 1 mb 2 tt1 1 r 0
s_nop 1                                            // v_accvgpr read vgpr after write vgpr: 2 wait states
ds_bpermute_b32 v5, v0, v5, offset:192             // permute edge values
s_waitcnt 0                                        // wait for swizzle operation
v_accvgpr_write_b32 acc20, v5                      // 
v_accvgpr_read_b32 v5, acc35                       // glvw 1 mb 2 tt1 2 r 0
s_nop 1                                            // v_accvgpr read vgpr after write vgpr: 2 wait states
ds_bpermute_b32 v5, v0, v5, offset:192             // permute edge values
s_waitcnt 0                                        // wait for swizzle operation
v_accvgpr_write_b32 acc32, v5                      // 
s_mov_b64 s[32:33], 0xFFFFFFFFFFFFFFFF             // to restore all threads active
s_or_saveexec_b64 vcc, s[32:33]                    // all threads active
s_branch label_0134                                // done shifting


/******************************************/
/* shift d0 r=2 mb=0 vw0                  */
/******************************************/
label_0038: // r2 mb0 vw0 
s_mov_b32 s32, 0                                   // 
_v_cmpx_eq_u32 s[32:33], v4, s32                   // is thread in edge glvw region
v_and_b32 v0, 63, v[vgprSerial]                    // permute register between threads
v_lshlrev_b32 v0, 2, v0                            // permute register between threads
v_accvgpr_read_b32 v5, acc2                        // glvw 2 mb 0 tt1 0 r 0
v_accvgpr_read_b32 v6, acc3                        // glvw 2 mb 0 tt1 0 r 0
s_nop 1                                            // v_accvgpr read vgpr after write vgpr: 2 wait states
ds_bpermute_b32 v5, v0, v5, offset:192             // permute edge values
ds_bpermute_b32 v6, v0, v6, offset:192             // permute edge values
s_waitcnt 0                                        // wait for swizzle operation
v_accvgpr_write_b32 acc0, v5                       // 
v_accvgpr_write_b32 acc1, v6                       // 
v_accvgpr_read_b32 v5, acc14                       // glvw 2 mb 0 tt1 1 r 0
v_accvgpr_read_b32 v6, acc15                       // glvw 2 mb 0 tt1 1 r 0
s_nop 1                                            // v_accvgpr read vgpr after write vgpr: 2 wait states
ds_bpermute_b32 v5, v0, v5, offset:192             // permute edge values
ds_bpermute_b32 v6, v0, v6, offset:192             // permute edge values
s_waitcnt 0                                        // wait for swizzle operation
v_accvgpr_write_b32 acc12, v5                      // 
v_accvgpr_write_b32 acc13, v6                      // 
v_accvgpr_read_b32 v5, acc26                       // glvw 2 mb 0 tt1 2 r 0
v_accvgpr_read_b32 v6, acc27                       // glvw 2 mb 0 tt1 2 r 0
s_nop 1                                            // v_accvgpr read vgpr after write vgpr: 2 wait states
ds_bpermute_b32 v5, v0, v5, offset:192             // permute edge values
ds_bpermute_b32 v6, v0, v6, offset:192             // permute edge values
s_waitcnt 0                                        // wait for swizzle operation
v_accvgpr_write_b32 acc24, v5                      // 
v_accvgpr_write_b32 acc25, v6                      // 
s_mov_b64 s[32:33], 0xFFFFFFFFFFFFFFFF             // to restore all threads active
s_or_saveexec_b64 vcc, s[32:33]                    // all threads active
s_branch label_0134                                // done shifting


/******************************************/
/* shift d0 r=2 mb=1 vw0                  */
/******************************************/
label_0040: // r2 mb1 vw0 
s_mov_b32 s32, 2                                   // 
_v_cmpx_eq_u32 s[32:33], v4, s32                   // is thread in edge glvw region
v_and_b32 v0, 63, v[vgprSerial]                    // permute register between threads
v_lshlrev_b32 v0, 2, v0                            // permute register between threads
v_accvgpr_read_b32 v5, acc6                        // glvw 2 mb 1 tt1 0 r 0
v_accvgpr_read_b32 v6, acc7                        // glvw 2 mb 1 tt1 0 r 0
s_nop 1                                            // v_accvgpr read vgpr after write vgpr: 2 wait states
ds_bpermute_b32 v5, v0, v5, offset:192             // permute edge values
ds_bpermute_b32 v6, v0, v6, offset:192             // permute edge values
s_waitcnt 0                                        // wait for swizzle operation
v_accvgpr_write_b32 acc4, v5                       // 
v_accvgpr_write_b32 acc5, v6                       // 
v_accvgpr_read_b32 v5, acc18                       // glvw 2 mb 1 tt1 1 r 0
v_accvgpr_read_b32 v6, acc19                       // glvw 2 mb 1 tt1 1 r 0
s_nop 1                                            // v_accvgpr read vgpr after write vgpr: 2 wait states
ds_bpermute_b32 v5, v0, v5, offset:192             // permute edge values
ds_bpermute_b32 v6, v0, v6, offset:192             // permute edge values
s_waitcnt 0                                        // wait for swizzle operation
v_accvgpr_write_b32 acc16, v5                      // 
v_accvgpr_write_b32 acc17, v6                      // 
v_accvgpr_read_b32 v5, acc30                       // glvw 2 mb 1 tt1 2 r 0
v_accvgpr_read_b32 v6, acc31                       // glvw 2 mb 1 tt1 2 r 0
s_nop 1                                            // v_accvgpr read vgpr after write vgpr: 2 wait states
ds_bpermute_b32 v5, v0, v5, offset:192             // permute edge values
ds_bpermute_b32 v6, v0, v6, offset:192             // permute edge values
s_waitcnt 0                                        // wait for swizzle operation
v_accvgpr_write_b32 acc28, v5                      // 
v_accvgpr_write_b32 acc29, v6                      // 
s_mov_b64 s[32:33], 0xFFFFFFFFFFFFFFFF             // to restore all threads active
s_or_saveexec_b64 vcc, s[32:33]                    // all threads active
s_branch label_0134                                // done shifting


/******************************************/
/* shift d0 r=2 mb=2 vw0                  */
/******************************************/
label_0042: // r2 mb2 vw0 
s_mov_b32 s32, 4                                   // 
_v_cmpx_eq_u32 s[32:33], v4, s32                   // is thread in edge glvw region
v_and_b32 v0, 63, v[vgprSerial]                    // permute register between threads
v_lshlrev_b32 v0, 2, v0                            // permute register between threads
v_accvgpr_read_b32 v5, acc10                       // glvw 2 mb 2 tt1 0 r 0
v_accvgpr_read_b32 v6, acc11                       // glvw 2 mb 2 tt1 0 r 0
s_nop 1                                            // v_accvgpr read vgpr after write vgpr: 2 wait states
ds_bpermute_b32 v5, v0, v5, offset:192             // permute edge values
ds_bpermute_b32 v6, v0, v6, offset:192             // permute edge values
s_waitcnt 0                                        // wait for swizzle operation
v_accvgpr_write_b32 acc8, v5                       // 
v_accvgpr_write_b32 acc9, v6                       // 
v_accvgpr_read_b32 v5, acc22                       // glvw 2 mb 2 tt1 1 r 0
v_accvgpr_read_b32 v6, acc23                       // glvw 2 mb 2 tt1 1 r 0
s_nop 1                                            // v_accvgpr read vgpr after write vgpr: 2 wait states
ds_bpermute_b32 v5, v0, v5, offset:192             // permute edge values
ds_bpermute_b32 v6, v0, v6, offset:192             // permute edge values
s_waitcnt 0                                        // wait for swizzle operation
v_accvgpr_write_b32 acc20, v5                      // 
v_accvgpr_write_b32 acc21, v6                      // 
v_accvgpr_read_b32 v5, acc34                       // glvw 2 mb 2 tt1 2 r 0
v_accvgpr_read_b32 v6, acc35                       // glvw 2 mb 2 tt1 2 r 0
s_nop 1                                            // v_accvgpr read vgpr after write vgpr: 2 wait states
ds_bpermute_b32 v5, v0, v5, offset:192             // permute edge values
ds_bpermute_b32 v6, v0, v6, offset:192             // permute edge values
s_waitcnt 0                                        // wait for swizzle operation
v_accvgpr_write_b32 acc32, v5                      // 
v_accvgpr_write_b32 acc33, v6                      // 
s_mov_b64 s[32:33], 0xFFFFFFFFFFFFFFFF             // to restore all threads active
s_or_saveexec_b64 vcc, s[32:33]                    // all threads active
s_branch label_0134                                // done shifting


/******************************************/
/* shift d0 r=3 mb=0 vw0                  */
/******************************************/
label_0045: // r3 mb0 vw0 
s_mov_b32 s32, 0                                   // 
_v_cmpx_eq_u32 s[32:33], v4, s32                   // is thread in edge glvw region
v_and_b32 v0, 63, v[vgprSerial]                    // permute register between threads
v_lshlrev_b32 v0, 2, v0                            // permute register between threads
v_accvgpr_read_b32 v5, acc1                        // glvw 3 mb 0 tt1 0 r 0
v_accvgpr_read_b32 v6, acc2                        // glvw 3 mb 0 tt1 0 r 0
v_accvgpr_read_b32 v7, acc3                        // glvw 3 mb 0 tt1 0 r 0
s_nop 1                                            // v_accvgpr read vgpr after write vgpr: 2 wait states
ds_bpermute_b32 v5, v0, v5, offset:192             // permute edge values
ds_bpermute_b32 v6, v0, v6, offset:192             // permute edge values
	;; [unrolled: 1-line block ×3, first 2 shown]
s_waitcnt 0                                        // wait for swizzle operation
v_accvgpr_write_b32 acc0, v5                       // 
v_accvgpr_write_b32 acc1, v6                       // 
v_accvgpr_write_b32 acc2, v7                       // 
v_accvgpr_read_b32 v5, acc13                       // glvw 3 mb 0 tt1 1 r 0
v_accvgpr_read_b32 v6, acc14                       // glvw 3 mb 0 tt1 1 r 0
v_accvgpr_read_b32 v7, acc15                       // glvw 3 mb 0 tt1 1 r 0
s_nop 1                                            // v_accvgpr read vgpr after write vgpr: 2 wait states
ds_bpermute_b32 v5, v0, v5, offset:192             // permute edge values
ds_bpermute_b32 v6, v0, v6, offset:192             // permute edge values
	;; [unrolled: 1-line block ×3, first 2 shown]
s_waitcnt 0                                        // wait for swizzle operation
v_accvgpr_write_b32 acc12, v5                      // 
v_accvgpr_write_b32 acc13, v6                      // 
v_accvgpr_write_b32 acc14, v7                      // 
v_accvgpr_read_b32 v5, acc25                       // glvw 3 mb 0 tt1 2 r 0
v_accvgpr_read_b32 v6, acc26                       // glvw 3 mb 0 tt1 2 r 0
v_accvgpr_read_b32 v7, acc27                       // glvw 3 mb 0 tt1 2 r 0
s_nop 1                                            // v_accvgpr read vgpr after write vgpr: 2 wait states
ds_bpermute_b32 v5, v0, v5, offset:192             // permute edge values
ds_bpermute_b32 v6, v0, v6, offset:192             // permute edge values
	;; [unrolled: 1-line block ×3, first 2 shown]
s_waitcnt 0                                        // wait for swizzle operation
v_accvgpr_write_b32 acc24, v5                      // 
v_accvgpr_write_b32 acc25, v6                      // 
v_accvgpr_write_b32 acc26, v7                      // 
s_mov_b64 s[32:33], 0xFFFFFFFFFFFFFFFF             // to restore all threads active
s_or_saveexec_b64 vcc, s[32:33]                    // all threads active
s_branch label_0134                                // done shifting


/******************************************/
/* shift d0 r=3 mb=1 vw0                  */
/******************************************/
label_0047: // r3 mb1 vw0 
s_mov_b32 s32, 2                                   // 
_v_cmpx_eq_u32 s[32:33], v4, s32                   // is thread in edge glvw region
v_and_b32 v0, 63, v[vgprSerial]                    // permute register between threads
v_lshlrev_b32 v0, 2, v0                            // permute register between threads
v_accvgpr_read_b32 v5, acc5                        // glvw 3 mb 1 tt1 0 r 0
v_accvgpr_read_b32 v6, acc6                        // glvw 3 mb 1 tt1 0 r 0
v_accvgpr_read_b32 v7, acc7                        // glvw 3 mb 1 tt1 0 r 0
s_nop 1                                            // v_accvgpr read vgpr after write vgpr: 2 wait states
ds_bpermute_b32 v5, v0, v5, offset:192             // permute edge values
ds_bpermute_b32 v6, v0, v6, offset:192             // permute edge values
	;; [unrolled: 1-line block ×3, first 2 shown]
s_waitcnt 0                                        // wait for swizzle operation
v_accvgpr_write_b32 acc4, v5                       // 
v_accvgpr_write_b32 acc5, v6                       // 
v_accvgpr_write_b32 acc6, v7                       // 
v_accvgpr_read_b32 v5, acc17                       // glvw 3 mb 1 tt1 1 r 0
v_accvgpr_read_b32 v6, acc18                       // glvw 3 mb 1 tt1 1 r 0
v_accvgpr_read_b32 v7, acc19                       // glvw 3 mb 1 tt1 1 r 0
s_nop 1                                            // v_accvgpr read vgpr after write vgpr: 2 wait states
ds_bpermute_b32 v5, v0, v5, offset:192             // permute edge values
ds_bpermute_b32 v6, v0, v6, offset:192             // permute edge values
	;; [unrolled: 1-line block ×3, first 2 shown]
s_waitcnt 0                                        // wait for swizzle operation
v_accvgpr_write_b32 acc16, v5                      // 
v_accvgpr_write_b32 acc17, v6                      // 
v_accvgpr_write_b32 acc18, v7                      // 
v_accvgpr_read_b32 v5, acc29                       // glvw 3 mb 1 tt1 2 r 0
v_accvgpr_read_b32 v6, acc30                       // glvw 3 mb 1 tt1 2 r 0
v_accvgpr_read_b32 v7, acc31                       // glvw 3 mb 1 tt1 2 r 0
s_nop 1                                            // v_accvgpr read vgpr after write vgpr: 2 wait states
ds_bpermute_b32 v5, v0, v5, offset:192             // permute edge values
ds_bpermute_b32 v6, v0, v6, offset:192             // permute edge values
	;; [unrolled: 1-line block ×3, first 2 shown]
s_waitcnt 0                                        // wait for swizzle operation
v_accvgpr_write_b32 acc28, v5                      // 
v_accvgpr_write_b32 acc29, v6                      // 
v_accvgpr_write_b32 acc30, v7                      // 
s_mov_b64 s[32:33], 0xFFFFFFFFFFFFFFFF             // to restore all threads active
s_or_saveexec_b64 vcc, s[32:33]                    // all threads active
s_branch label_0134                                // done shifting


/******************************************/
/* shift d0 r=3 mb=2 vw0                  */
/******************************************/
label_0049: // r3 mb2 vw0 
s_mov_b32 s32, 4                                   // 
_v_cmpx_eq_u32 s[32:33], v4, s32                   // is thread in edge glvw region
v_and_b32 v0, 63, v[vgprSerial]                    // permute register between threads
v_lshlrev_b32 v0, 2, v0                            // permute register between threads
v_accvgpr_read_b32 v5, acc9                        // glvw 3 mb 2 tt1 0 r 0
v_accvgpr_read_b32 v6, acc10                       // glvw 3 mb 2 tt1 0 r 0
v_accvgpr_read_b32 v7, acc11                       // glvw 3 mb 2 tt1 0 r 0
s_nop 1                                            // v_accvgpr read vgpr after write vgpr: 2 wait states
ds_bpermute_b32 v5, v0, v5, offset:192             // permute edge values
ds_bpermute_b32 v6, v0, v6, offset:192             // permute edge values
	;; [unrolled: 1-line block ×3, first 2 shown]
s_waitcnt 0                                        // wait for swizzle operation
v_accvgpr_write_b32 acc8, v5                       // 
v_accvgpr_write_b32 acc9, v6                       // 
v_accvgpr_write_b32 acc10, v7                      // 
v_accvgpr_read_b32 v5, acc21                       // glvw 3 mb 2 tt1 1 r 0
v_accvgpr_read_b32 v6, acc22                       // glvw 3 mb 2 tt1 1 r 0
v_accvgpr_read_b32 v7, acc23                       // glvw 3 mb 2 tt1 1 r 0
s_nop 1                                            // v_accvgpr read vgpr after write vgpr: 2 wait states
ds_bpermute_b32 v5, v0, v5, offset:192             // permute edge values
ds_bpermute_b32 v6, v0, v6, offset:192             // permute edge values
	;; [unrolled: 1-line block ×3, first 2 shown]
s_waitcnt 0                                        // wait for swizzle operation
v_accvgpr_write_b32 acc20, v5                      // 
v_accvgpr_write_b32 acc21, v6                      // 
v_accvgpr_write_b32 acc22, v7                      // 
v_accvgpr_read_b32 v5, acc33                       // glvw 3 mb 2 tt1 2 r 0
v_accvgpr_read_b32 v6, acc34                       // glvw 3 mb 2 tt1 2 r 0
v_accvgpr_read_b32 v7, acc35                       // glvw 3 mb 2 tt1 2 r 0
s_nop 1                                            // v_accvgpr read vgpr after write vgpr: 2 wait states
ds_bpermute_b32 v5, v0, v5, offset:192             // permute edge values
ds_bpermute_b32 v6, v0, v6, offset:192             // permute edge values
	;; [unrolled: 1-line block ×3, first 2 shown]
s_waitcnt 0                                        // wait for swizzle operation
v_accvgpr_write_b32 acc32, v5                      // 
v_accvgpr_write_b32 acc33, v6                      // 
v_accvgpr_write_b32 acc34, v7                      // 
s_mov_b64 s[32:33], 0xFFFFFFFFFFFFFFFF             // to restore all threads active
s_or_saveexec_b64 vcc, s[32:33]                    // all threads active
s_branch label_0134                                // done shifting


/******************************************/
/* shift d0 r=4 mb=0 vw0                  */
/******************************************/
label_0052: // r4 mb0 vw0 
s_mov_b32 s32, 0                                   // 
_v_cmpx_eq_u32 s[32:33], v4, s32                   // is thread in edge glvw region
v_and_b32 v0, 63, v[vgprSerial]                    // permute register between threads
v_lshlrev_b32 v0, 2, v0                            // permute register between threads
v_accvgpr_read_b32 v5, acc0                        // glvw 4 mb 0 tt1 0 r 0
v_accvgpr_read_b32 v6, acc1                        // glvw 4 mb 0 tt1 0 r 0
v_accvgpr_read_b32 v7, acc2                        // glvw 4 mb 0 tt1 0 r 0
v_accvgpr_read_b32 v8, acc3                        // glvw 4 mb 0 tt1 0 r 0
s_nop 1                                            // v_accvgpr read vgpr after write vgpr: 2 wait states
ds_bpermute_b32 v5, v0, v5, offset:192             // permute edge values
ds_bpermute_b32 v6, v0, v6, offset:192             // permute edge values
	;; [unrolled: 1-line block ×4, first 2 shown]
s_waitcnt 0                                        // wait for swizzle operation
v_accvgpr_write_b32 acc0, v5                       // 
v_accvgpr_write_b32 acc1, v6                       // 
v_accvgpr_write_b32 acc2, v7                       // 
v_accvgpr_write_b32 acc3, v8                       // 
v_accvgpr_read_b32 v5, acc12                       // glvw 4 mb 0 tt1 1 r 0
v_accvgpr_read_b32 v6, acc13                       // glvw 4 mb 0 tt1 1 r 0
v_accvgpr_read_b32 v7, acc14                       // glvw 4 mb 0 tt1 1 r 0
v_accvgpr_read_b32 v8, acc15                       // glvw 4 mb 0 tt1 1 r 0
s_nop 1                                            // v_accvgpr read vgpr after write vgpr: 2 wait states
ds_bpermute_b32 v5, v0, v5, offset:192             // permute edge values
ds_bpermute_b32 v6, v0, v6, offset:192             // permute edge values
	;; [unrolled: 1-line block ×4, first 2 shown]
s_waitcnt 0                                        // wait for swizzle operation
v_accvgpr_write_b32 acc12, v5                      // 
v_accvgpr_write_b32 acc13, v6                      // 
v_accvgpr_write_b32 acc14, v7                      // 
v_accvgpr_write_b32 acc15, v8                      // 
v_accvgpr_read_b32 v5, acc24                       // glvw 4 mb 0 tt1 2 r 0
v_accvgpr_read_b32 v6, acc25                       // glvw 4 mb 0 tt1 2 r 0
v_accvgpr_read_b32 v7, acc26                       // glvw 4 mb 0 tt1 2 r 0
v_accvgpr_read_b32 v8, acc27                       // glvw 4 mb 0 tt1 2 r 0
s_nop 1                                            // v_accvgpr read vgpr after write vgpr: 2 wait states
ds_bpermute_b32 v5, v0, v5, offset:192             // permute edge values
ds_bpermute_b32 v6, v0, v6, offset:192             // permute edge values
ds_bpermute_b32 v7, v0, v7, offset:192             // permute edge values
ds_bpermute_b32 v8, v0, v8, offset:192             // permute edge values
s_waitcnt 0                                        // wait for swizzle operation
v_accvgpr_write_b32 acc24, v5                      // 
v_accvgpr_write_b32 acc25, v6                      // 
v_accvgpr_write_b32 acc26, v7                      // 
v_accvgpr_write_b32 acc27, v8                      // 
s_mov_b64 s[32:33], 0xFFFFFFFFFFFFFFFF             // to restore all threads active
s_or_saveexec_b64 vcc, s[32:33]                    // all threads active
s_branch label_0134                                // done shifting


/******************************************/
/* shift d0 r=4 mb=1 vw0                  */
/******************************************/
label_0054: // r4 mb1 vw0 
s_mov_b32 s32, 2                                   // 
_v_cmpx_eq_u32 s[32:33], v4, s32                   // is thread in edge glvw region
v_and_b32 v0, 63, v[vgprSerial]                    // permute register between threads
v_lshlrev_b32 v0, 2, v0                            // permute register between threads
v_accvgpr_read_b32 v5, acc4                        // glvw 4 mb 1 tt1 0 r 0
v_accvgpr_read_b32 v6, acc5                        // glvw 4 mb 1 tt1 0 r 0
v_accvgpr_read_b32 v7, acc6                        // glvw 4 mb 1 tt1 0 r 0
v_accvgpr_read_b32 v8, acc7                        // glvw 4 mb 1 tt1 0 r 0
s_nop 1                                            // v_accvgpr read vgpr after write vgpr: 2 wait states
ds_bpermute_b32 v5, v0, v5, offset:192             // permute edge values
ds_bpermute_b32 v6, v0, v6, offset:192             // permute edge values
	;; [unrolled: 1-line block ×4, first 2 shown]
s_waitcnt 0                                        // wait for swizzle operation
v_accvgpr_write_b32 acc4, v5                       // 
v_accvgpr_write_b32 acc5, v6                       // 
v_accvgpr_write_b32 acc6, v7                       // 
v_accvgpr_write_b32 acc7, v8                       // 
v_accvgpr_read_b32 v5, acc16                       // glvw 4 mb 1 tt1 1 r 0
v_accvgpr_read_b32 v6, acc17                       // glvw 4 mb 1 tt1 1 r 0
v_accvgpr_read_b32 v7, acc18                       // glvw 4 mb 1 tt1 1 r 0
v_accvgpr_read_b32 v8, acc19                       // glvw 4 mb 1 tt1 1 r 0
s_nop 1                                            // v_accvgpr read vgpr after write vgpr: 2 wait states
ds_bpermute_b32 v5, v0, v5, offset:192             // permute edge values
ds_bpermute_b32 v6, v0, v6, offset:192             // permute edge values
	;; [unrolled: 1-line block ×4, first 2 shown]
s_waitcnt 0                                        // wait for swizzle operation
v_accvgpr_write_b32 acc16, v5                      // 
v_accvgpr_write_b32 acc17, v6                      // 
v_accvgpr_write_b32 acc18, v7                      // 
v_accvgpr_write_b32 acc19, v8                      // 
v_accvgpr_read_b32 v5, acc28                       // glvw 4 mb 1 tt1 2 r 0
v_accvgpr_read_b32 v6, acc29                       // glvw 4 mb 1 tt1 2 r 0
v_accvgpr_read_b32 v7, acc30                       // glvw 4 mb 1 tt1 2 r 0
v_accvgpr_read_b32 v8, acc31                       // glvw 4 mb 1 tt1 2 r 0
s_nop 1                                            // v_accvgpr read vgpr after write vgpr: 2 wait states
ds_bpermute_b32 v5, v0, v5, offset:192             // permute edge values
ds_bpermute_b32 v6, v0, v6, offset:192             // permute edge values
	;; [unrolled: 1-line block ×4, first 2 shown]
s_waitcnt 0                                        // wait for swizzle operation
v_accvgpr_write_b32 acc28, v5                      // 
v_accvgpr_write_b32 acc29, v6                      // 
v_accvgpr_write_b32 acc30, v7                      // 
v_accvgpr_write_b32 acc31, v8                      // 
s_mov_b64 s[32:33], 0xFFFFFFFFFFFFFFFF             // to restore all threads active
s_or_saveexec_b64 vcc, s[32:33]                    // all threads active
s_branch label_0134                                // done shifting


/******************************************/
/* shift d0 r=4 mb=2 vw0                  */
/******************************************/
label_0056: // r4 mb2 vw0 
s_mov_b32 s32, 4                                   // 
_v_cmpx_eq_u32 s[32:33], v4, s32                   // is thread in edge glvw region
v_and_b32 v0, 63, v[vgprSerial]                    // permute register between threads
v_lshlrev_b32 v0, 2, v0                            // permute register between threads
v_accvgpr_read_b32 v5, acc8                        // glvw 4 mb 2 tt1 0 r 0
v_accvgpr_read_b32 v6, acc9                        // glvw 4 mb 2 tt1 0 r 0
v_accvgpr_read_b32 v7, acc10                       // glvw 4 mb 2 tt1 0 r 0
v_accvgpr_read_b32 v8, acc11                       // glvw 4 mb 2 tt1 0 r 0
s_nop 1                                            // v_accvgpr read vgpr after write vgpr: 2 wait states
ds_bpermute_b32 v5, v0, v5, offset:192             // permute edge values
ds_bpermute_b32 v6, v0, v6, offset:192             // permute edge values
	;; [unrolled: 1-line block ×4, first 2 shown]
s_waitcnt 0                                        // wait for swizzle operation
v_accvgpr_write_b32 acc8, v5                       // 
v_accvgpr_write_b32 acc9, v6                       // 
v_accvgpr_write_b32 acc10, v7                      // 
v_accvgpr_write_b32 acc11, v8                      // 
v_accvgpr_read_b32 v5, acc20                       // glvw 4 mb 2 tt1 1 r 0
v_accvgpr_read_b32 v6, acc21                       // glvw 4 mb 2 tt1 1 r 0
v_accvgpr_read_b32 v7, acc22                       // glvw 4 mb 2 tt1 1 r 0
v_accvgpr_read_b32 v8, acc23                       // glvw 4 mb 2 tt1 1 r 0
s_nop 1                                            // v_accvgpr read vgpr after write vgpr: 2 wait states
ds_bpermute_b32 v5, v0, v5, offset:192             // permute edge values
ds_bpermute_b32 v6, v0, v6, offset:192             // permute edge values
	;; [unrolled: 1-line block ×4, first 2 shown]
s_waitcnt 0                                        // wait for swizzle operation
v_accvgpr_write_b32 acc20, v5                      // 
v_accvgpr_write_b32 acc21, v6                      // 
v_accvgpr_write_b32 acc22, v7                      // 
v_accvgpr_write_b32 acc23, v8                      // 
v_accvgpr_read_b32 v5, acc32                       // glvw 4 mb 2 tt1 2 r 0
v_accvgpr_read_b32 v6, acc33                       // glvw 4 mb 2 tt1 2 r 0
v_accvgpr_read_b32 v7, acc34                       // glvw 4 mb 2 tt1 2 r 0
v_accvgpr_read_b32 v8, acc35                       // glvw 4 mb 2 tt1 2 r 0
s_nop 1                                            // v_accvgpr read vgpr after write vgpr: 2 wait states
ds_bpermute_b32 v5, v0, v5, offset:192             // permute edge values
ds_bpermute_b32 v6, v0, v6, offset:192             // permute edge values
	;; [unrolled: 1-line block ×4, first 2 shown]
s_waitcnt 0                                        // wait for swizzle operation
v_accvgpr_write_b32 acc32, v5                      // 
v_accvgpr_write_b32 acc33, v6                      // 
v_accvgpr_write_b32 acc34, v7                      // 
v_accvgpr_write_b32 acc35, v8                      // 
s_mov_b64 s[32:33], 0xFFFFFFFFFFFFFFFF             // to restore all threads active
s_or_saveexec_b64 vcc, s[32:33]                    // all threads active
s_branch label_0134                                // done shifting


/******************************************/
/* shift d0 r=5 mb=0 vw0                  */
/******************************************/
label_0059: // r5 mb0 vw0 
s_mov_b32 s32, 0                                   // 
_v_cmpx_eq_u32 s[32:33], v4, s32                   // is thread in edge glvw region
v_and_b32 v0, 63, v[vgprSerial]                    // permute register between threads
v_lshlrev_b32 v0, 2, v0                            // permute register between threads
v_accvgpr_read_b32 v5, acc3                        // glvw 5 mb 0 tt1 0 r 0
v_accvgpr_read_b32 v6, acc0                        // glvw 5 mb 0 tt1 0 r 0
v_accvgpr_read_b32 v7, acc1                        // glvw 5 mb 0 tt1 0 r 0
v_accvgpr_read_b32 v8, acc2                        // glvw 5 mb 0 tt1 0 r 0
s_nop 1                                            // v_accvgpr read vgpr after write vgpr: 2 wait states
ds_bpermute_b32 v5, v0, v5, offset:128             // permute edge values
ds_bpermute_b32 v6, v0, v6, offset:192             // permute edge values
	;; [unrolled: 1-line block ×4, first 2 shown]
s_waitcnt 0                                        // wait for swizzle operation
v_accvgpr_write_b32 acc0, v5                       // 
v_accvgpr_write_b32 acc1, v6                       // 
v_accvgpr_write_b32 acc2, v7                       // 
v_accvgpr_write_b32 acc3, v8                       // 
v_accvgpr_read_b32 v5, acc15                       // glvw 5 mb 0 tt1 1 r 0
v_accvgpr_read_b32 v6, acc12                       // glvw 5 mb 0 tt1 1 r 0
v_accvgpr_read_b32 v7, acc13                       // glvw 5 mb 0 tt1 1 r 0
v_accvgpr_read_b32 v8, acc14                       // glvw 5 mb 0 tt1 1 r 0
s_nop 1                                            // v_accvgpr read vgpr after write vgpr: 2 wait states
ds_bpermute_b32 v5, v0, v5, offset:128             // permute edge values
ds_bpermute_b32 v6, v0, v6, offset:192             // permute edge values
	;; [unrolled: 1-line block ×4, first 2 shown]
s_waitcnt 0                                        // wait for swizzle operation
v_accvgpr_write_b32 acc12, v5                      // 
v_accvgpr_write_b32 acc13, v6                      // 
v_accvgpr_write_b32 acc14, v7                      // 
v_accvgpr_write_b32 acc15, v8                      // 
v_accvgpr_read_b32 v5, acc27                       // glvw 5 mb 0 tt1 2 r 0
v_accvgpr_read_b32 v6, acc24                       // glvw 5 mb 0 tt1 2 r 0
v_accvgpr_read_b32 v7, acc25                       // glvw 5 mb 0 tt1 2 r 0
v_accvgpr_read_b32 v8, acc26                       // glvw 5 mb 0 tt1 2 r 0
s_nop 1                                            // v_accvgpr read vgpr after write vgpr: 2 wait states
ds_bpermute_b32 v5, v0, v5, offset:128             // permute edge values
ds_bpermute_b32 v6, v0, v6, offset:192             // permute edge values
	;; [unrolled: 1-line block ×4, first 2 shown]
s_waitcnt 0                                        // wait for swizzle operation
v_accvgpr_write_b32 acc24, v5                      // 
v_accvgpr_write_b32 acc25, v6                      // 
v_accvgpr_write_b32 acc26, v7                      // 
v_accvgpr_write_b32 acc27, v8                      // 
s_mov_b64 s[32:33], 0xFFFFFFFFFFFFFFFF             // to restore all threads active
s_or_saveexec_b64 vcc, s[32:33]                    // all threads active
s_branch label_0134                                // done shifting


/******************************************/
/* shift d0 r=5 mb=1 vw0                  */
/******************************************/
label_0061: // r5 mb1 vw0 
s_mov_b32 s32, 2                                   // 
_v_cmpx_eq_u32 s[32:33], v4, s32                   // is thread in edge glvw region
v_and_b32 v0, 63, v[vgprSerial]                    // permute register between threads
v_lshlrev_b32 v0, 2, v0                            // permute register between threads
v_accvgpr_read_b32 v5, acc7                        // glvw 5 mb 1 tt1 0 r 0
v_accvgpr_read_b32 v6, acc4                        // glvw 5 mb 1 tt1 0 r 0
v_accvgpr_read_b32 v7, acc5                        // glvw 5 mb 1 tt1 0 r 0
v_accvgpr_read_b32 v8, acc6                        // glvw 5 mb 1 tt1 0 r 0
s_nop 1                                            // v_accvgpr read vgpr after write vgpr: 2 wait states
ds_bpermute_b32 v5, v0, v5, offset:128             // permute edge values
ds_bpermute_b32 v6, v0, v6, offset:192             // permute edge values
	;; [unrolled: 1-line block ×4, first 2 shown]
s_waitcnt 0                                        // wait for swizzle operation
v_accvgpr_write_b32 acc4, v5                       // 
v_accvgpr_write_b32 acc5, v6                       // 
v_accvgpr_write_b32 acc6, v7                       // 
v_accvgpr_write_b32 acc7, v8                       // 
v_accvgpr_read_b32 v5, acc19                       // glvw 5 mb 1 tt1 1 r 0
v_accvgpr_read_b32 v6, acc16                       // glvw 5 mb 1 tt1 1 r 0
v_accvgpr_read_b32 v7, acc17                       // glvw 5 mb 1 tt1 1 r 0
v_accvgpr_read_b32 v8, acc18                       // glvw 5 mb 1 tt1 1 r 0
s_nop 1                                            // v_accvgpr read vgpr after write vgpr: 2 wait states
ds_bpermute_b32 v5, v0, v5, offset:128             // permute edge values
ds_bpermute_b32 v6, v0, v6, offset:192             // permute edge values
	;; [unrolled: 1-line block ×4, first 2 shown]
s_waitcnt 0                                        // wait for swizzle operation
v_accvgpr_write_b32 acc16, v5                      // 
v_accvgpr_write_b32 acc17, v6                      // 
v_accvgpr_write_b32 acc18, v7                      // 
v_accvgpr_write_b32 acc19, v8                      // 
v_accvgpr_read_b32 v5, acc31                       // glvw 5 mb 1 tt1 2 r 0
v_accvgpr_read_b32 v6, acc28                       // glvw 5 mb 1 tt1 2 r 0
v_accvgpr_read_b32 v7, acc29                       // glvw 5 mb 1 tt1 2 r 0
v_accvgpr_read_b32 v8, acc30                       // glvw 5 mb 1 tt1 2 r 0
s_nop 1                                            // v_accvgpr read vgpr after write vgpr: 2 wait states
ds_bpermute_b32 v5, v0, v5, offset:128             // permute edge values
ds_bpermute_b32 v6, v0, v6, offset:192             // permute edge values
	;; [unrolled: 1-line block ×4, first 2 shown]
s_waitcnt 0                                        // wait for swizzle operation
v_accvgpr_write_b32 acc28, v5                      // 
v_accvgpr_write_b32 acc29, v6                      // 
v_accvgpr_write_b32 acc30, v7                      // 
v_accvgpr_write_b32 acc31, v8                      // 
s_mov_b64 s[32:33], 0xFFFFFFFFFFFFFFFF             // to restore all threads active
s_or_saveexec_b64 vcc, s[32:33]                    // all threads active
s_branch label_0134                                // done shifting


/******************************************/
/* shift d0 r=5 mb=2 vw0                  */
/******************************************/
label_0063: // r5 mb2 vw0 
s_mov_b32 s32, 4                                   // 
_v_cmpx_eq_u32 s[32:33], v4, s32                   // is thread in edge glvw region
v_and_b32 v0, 63, v[vgprSerial]                    // permute register between threads
v_lshlrev_b32 v0, 2, v0                            // permute register between threads
v_accvgpr_read_b32 v5, acc11                       // glvw 5 mb 2 tt1 0 r 0
v_accvgpr_read_b32 v6, acc8                        // glvw 5 mb 2 tt1 0 r 0
v_accvgpr_read_b32 v7, acc9                        // glvw 5 mb 2 tt1 0 r 0
v_accvgpr_read_b32 v8, acc10                       // glvw 5 mb 2 tt1 0 r 0
s_nop 1                                            // v_accvgpr read vgpr after write vgpr: 2 wait states
ds_bpermute_b32 v5, v0, v5, offset:128             // permute edge values
ds_bpermute_b32 v6, v0, v6, offset:192             // permute edge values
	;; [unrolled: 1-line block ×4, first 2 shown]
s_waitcnt 0                                        // wait for swizzle operation
v_accvgpr_write_b32 acc8, v5                       // 
v_accvgpr_write_b32 acc9, v6                       // 
v_accvgpr_write_b32 acc10, v7                      // 
v_accvgpr_write_b32 acc11, v8                      // 
v_accvgpr_read_b32 v5, acc23                       // glvw 5 mb 2 tt1 1 r 0
v_accvgpr_read_b32 v6, acc20                       // glvw 5 mb 2 tt1 1 r 0
v_accvgpr_read_b32 v7, acc21                       // glvw 5 mb 2 tt1 1 r 0
v_accvgpr_read_b32 v8, acc22                       // glvw 5 mb 2 tt1 1 r 0
s_nop 1                                            // v_accvgpr read vgpr after write vgpr: 2 wait states
ds_bpermute_b32 v5, v0, v5, offset:128             // permute edge values
ds_bpermute_b32 v6, v0, v6, offset:192             // permute edge values
	;; [unrolled: 1-line block ×4, first 2 shown]
s_waitcnt 0                                        // wait for swizzle operation
v_accvgpr_write_b32 acc20, v5                      // 
v_accvgpr_write_b32 acc21, v6                      // 
v_accvgpr_write_b32 acc22, v7                      // 
v_accvgpr_write_b32 acc23, v8                      // 
v_accvgpr_read_b32 v5, acc35                       // glvw 5 mb 2 tt1 2 r 0
v_accvgpr_read_b32 v6, acc32                       // glvw 5 mb 2 tt1 2 r 0
v_accvgpr_read_b32 v7, acc33                       // glvw 5 mb 2 tt1 2 r 0
v_accvgpr_read_b32 v8, acc34                       // glvw 5 mb 2 tt1 2 r 0
s_nop 1                                            // v_accvgpr read vgpr after write vgpr: 2 wait states
ds_bpermute_b32 v5, v0, v5, offset:128             // permute edge values
ds_bpermute_b32 v6, v0, v6, offset:192             // permute edge values
	;; [unrolled: 1-line block ×4, first 2 shown]
s_waitcnt 0                                        // wait for swizzle operation
v_accvgpr_write_b32 acc32, v5                      // 
v_accvgpr_write_b32 acc33, v6                      // 
v_accvgpr_write_b32 acc34, v7                      // 
v_accvgpr_write_b32 acc35, v8                      // 
s_mov_b64 s[32:33], 0xFFFFFFFFFFFFFFFF             // to restore all threads active
s_or_saveexec_b64 vcc, s[32:33]                    // all threads active
s_branch label_0134                                // done shifting


/******************************************/
/* shift d0 r=6 mb=0 vw0                  */
/******************************************/
label_0066: // r6 mb0 vw0 
s_mov_b32 s32, 0                                   // 
_v_cmpx_eq_u32 s[32:33], v4, s32                   // is thread in edge glvw region
v_and_b32 v0, 63, v[vgprSerial]                    // permute register between threads
v_lshlrev_b32 v0, 2, v0                            // permute register between threads
v_accvgpr_read_b32 v5, acc2                        // glvw 6 mb 0 tt1 0 r 0
v_accvgpr_read_b32 v6, acc3                        // glvw 6 mb 0 tt1 0 r 0
v_accvgpr_read_b32 v7, acc0                        // glvw 6 mb 0 tt1 0 r 0
v_accvgpr_read_b32 v8, acc1                        // glvw 6 mb 0 tt1 0 r 0
s_nop 1                                            // v_accvgpr read vgpr after write vgpr: 2 wait states
ds_bpermute_b32 v5, v0, v5, offset:128             // permute edge values
ds_bpermute_b32 v6, v0, v6, offset:128             // permute edge values
	;; [unrolled: 1-line block ×4, first 2 shown]
s_waitcnt 0                                        // wait for swizzle operation
v_accvgpr_write_b32 acc0, v5                       // 
v_accvgpr_write_b32 acc1, v6                       // 
v_accvgpr_write_b32 acc2, v7                       // 
v_accvgpr_write_b32 acc3, v8                       // 
v_accvgpr_read_b32 v5, acc14                       // glvw 6 mb 0 tt1 1 r 0
v_accvgpr_read_b32 v6, acc15                       // glvw 6 mb 0 tt1 1 r 0
v_accvgpr_read_b32 v7, acc12                       // glvw 6 mb 0 tt1 1 r 0
v_accvgpr_read_b32 v8, acc13                       // glvw 6 mb 0 tt1 1 r 0
s_nop 1                                            // v_accvgpr read vgpr after write vgpr: 2 wait states
ds_bpermute_b32 v5, v0, v5, offset:128             // permute edge values
ds_bpermute_b32 v6, v0, v6, offset:128             // permute edge values
	;; [unrolled: 1-line block ×4, first 2 shown]
s_waitcnt 0                                        // wait for swizzle operation
v_accvgpr_write_b32 acc12, v5                      // 
v_accvgpr_write_b32 acc13, v6                      // 
v_accvgpr_write_b32 acc14, v7                      // 
v_accvgpr_write_b32 acc15, v8                      // 
v_accvgpr_read_b32 v5, acc26                       // glvw 6 mb 0 tt1 2 r 0
v_accvgpr_read_b32 v6, acc27                       // glvw 6 mb 0 tt1 2 r 0
v_accvgpr_read_b32 v7, acc24                       // glvw 6 mb 0 tt1 2 r 0
v_accvgpr_read_b32 v8, acc25                       // glvw 6 mb 0 tt1 2 r 0
s_nop 1                                            // v_accvgpr read vgpr after write vgpr: 2 wait states
ds_bpermute_b32 v5, v0, v5, offset:128             // permute edge values
ds_bpermute_b32 v6, v0, v6, offset:128             // permute edge values
	;; [unrolled: 1-line block ×4, first 2 shown]
s_waitcnt 0                                        // wait for swizzle operation
v_accvgpr_write_b32 acc24, v5                      // 
v_accvgpr_write_b32 acc25, v6                      // 
v_accvgpr_write_b32 acc26, v7                      // 
v_accvgpr_write_b32 acc27, v8                      // 
s_mov_b64 s[32:33], 0xFFFFFFFFFFFFFFFF             // to restore all threads active
s_or_saveexec_b64 vcc, s[32:33]                    // all threads active
s_branch label_0134                                // done shifting


/******************************************/
/* shift d0 r=6 mb=1 vw0                  */
/******************************************/
label_0068: // r6 mb1 vw0 
s_mov_b32 s32, 2                                   // 
_v_cmpx_eq_u32 s[32:33], v4, s32                   // is thread in edge glvw region
v_and_b32 v0, 63, v[vgprSerial]                    // permute register between threads
v_lshlrev_b32 v0, 2, v0                            // permute register between threads
v_accvgpr_read_b32 v5, acc6                        // glvw 6 mb 1 tt1 0 r 0
v_accvgpr_read_b32 v6, acc7                        // glvw 6 mb 1 tt1 0 r 0
v_accvgpr_read_b32 v7, acc4                        // glvw 6 mb 1 tt1 0 r 0
v_accvgpr_read_b32 v8, acc5                        // glvw 6 mb 1 tt1 0 r 0
s_nop 1                                            // v_accvgpr read vgpr after write vgpr: 2 wait states
ds_bpermute_b32 v5, v0, v5, offset:128             // permute edge values
ds_bpermute_b32 v6, v0, v6, offset:128             // permute edge values
	;; [unrolled: 1-line block ×4, first 2 shown]
s_waitcnt 0                                        // wait for swizzle operation
v_accvgpr_write_b32 acc4, v5                       // 
v_accvgpr_write_b32 acc5, v6                       // 
v_accvgpr_write_b32 acc6, v7                       // 
v_accvgpr_write_b32 acc7, v8                       // 
v_accvgpr_read_b32 v5, acc18                       // glvw 6 mb 1 tt1 1 r 0
v_accvgpr_read_b32 v6, acc19                       // glvw 6 mb 1 tt1 1 r 0
v_accvgpr_read_b32 v7, acc16                       // glvw 6 mb 1 tt1 1 r 0
v_accvgpr_read_b32 v8, acc17                       // glvw 6 mb 1 tt1 1 r 0
s_nop 1                                            // v_accvgpr read vgpr after write vgpr: 2 wait states
ds_bpermute_b32 v5, v0, v5, offset:128             // permute edge values
ds_bpermute_b32 v6, v0, v6, offset:128             // permute edge values
	;; [unrolled: 1-line block ×4, first 2 shown]
s_waitcnt 0                                        // wait for swizzle operation
v_accvgpr_write_b32 acc16, v5                      // 
v_accvgpr_write_b32 acc17, v6                      // 
v_accvgpr_write_b32 acc18, v7                      // 
v_accvgpr_write_b32 acc19, v8                      // 
v_accvgpr_read_b32 v5, acc30                       // glvw 6 mb 1 tt1 2 r 0
v_accvgpr_read_b32 v6, acc31                       // glvw 6 mb 1 tt1 2 r 0
v_accvgpr_read_b32 v7, acc28                       // glvw 6 mb 1 tt1 2 r 0
v_accvgpr_read_b32 v8, acc29                       // glvw 6 mb 1 tt1 2 r 0
s_nop 1                                            // v_accvgpr read vgpr after write vgpr: 2 wait states
ds_bpermute_b32 v5, v0, v5, offset:128             // permute edge values
ds_bpermute_b32 v6, v0, v6, offset:128             // permute edge values
	;; [unrolled: 1-line block ×4, first 2 shown]
s_waitcnt 0                                        // wait for swizzle operation
v_accvgpr_write_b32 acc28, v5                      // 
v_accvgpr_write_b32 acc29, v6                      // 
v_accvgpr_write_b32 acc30, v7                      // 
v_accvgpr_write_b32 acc31, v8                      // 
s_mov_b64 s[32:33], 0xFFFFFFFFFFFFFFFF             // to restore all threads active
s_or_saveexec_b64 vcc, s[32:33]                    // all threads active
s_branch label_0134                                // done shifting


/******************************************/
/* shift d0 r=6 mb=2 vw0                  */
/******************************************/
label_0070: // r6 mb2 vw0 
s_mov_b32 s32, 4                                   // 
_v_cmpx_eq_u32 s[32:33], v4, s32                   // is thread in edge glvw region
v_and_b32 v0, 63, v[vgprSerial]                    // permute register between threads
v_lshlrev_b32 v0, 2, v0                            // permute register between threads
v_accvgpr_read_b32 v5, acc10                       // glvw 6 mb 2 tt1 0 r 0
v_accvgpr_read_b32 v6, acc11                       // glvw 6 mb 2 tt1 0 r 0
v_accvgpr_read_b32 v7, acc8                        // glvw 6 mb 2 tt1 0 r 0
v_accvgpr_read_b32 v8, acc9                        // glvw 6 mb 2 tt1 0 r 0
s_nop 1                                            // v_accvgpr read vgpr after write vgpr: 2 wait states
ds_bpermute_b32 v5, v0, v5, offset:128             // permute edge values
ds_bpermute_b32 v6, v0, v6, offset:128             // permute edge values
	;; [unrolled: 1-line block ×4, first 2 shown]
s_waitcnt 0                                        // wait for swizzle operation
v_accvgpr_write_b32 acc8, v5                       // 
v_accvgpr_write_b32 acc9, v6                       // 
v_accvgpr_write_b32 acc10, v7                      // 
v_accvgpr_write_b32 acc11, v8                      // 
v_accvgpr_read_b32 v5, acc22                       // glvw 6 mb 2 tt1 1 r 0
v_accvgpr_read_b32 v6, acc23                       // glvw 6 mb 2 tt1 1 r 0
v_accvgpr_read_b32 v7, acc20                       // glvw 6 mb 2 tt1 1 r 0
v_accvgpr_read_b32 v8, acc21                       // glvw 6 mb 2 tt1 1 r 0
s_nop 1                                            // v_accvgpr read vgpr after write vgpr: 2 wait states
ds_bpermute_b32 v5, v0, v5, offset:128             // permute edge values
ds_bpermute_b32 v6, v0, v6, offset:128             // permute edge values
	;; [unrolled: 1-line block ×4, first 2 shown]
s_waitcnt 0                                        // wait for swizzle operation
v_accvgpr_write_b32 acc20, v5                      // 
v_accvgpr_write_b32 acc21, v6                      // 
v_accvgpr_write_b32 acc22, v7                      // 
v_accvgpr_write_b32 acc23, v8                      // 
v_accvgpr_read_b32 v5, acc34                       // glvw 6 mb 2 tt1 2 r 0
v_accvgpr_read_b32 v6, acc35                       // glvw 6 mb 2 tt1 2 r 0
v_accvgpr_read_b32 v7, acc32                       // glvw 6 mb 2 tt1 2 r 0
v_accvgpr_read_b32 v8, acc33                       // glvw 6 mb 2 tt1 2 r 0
s_nop 1                                            // v_accvgpr read vgpr after write vgpr: 2 wait states
ds_bpermute_b32 v5, v0, v5, offset:128             // permute edge values
ds_bpermute_b32 v6, v0, v6, offset:128             // permute edge values
	;; [unrolled: 1-line block ×4, first 2 shown]
s_waitcnt 0                                        // wait for swizzle operation
v_accvgpr_write_b32 acc32, v5                      // 
v_accvgpr_write_b32 acc33, v6                      // 
v_accvgpr_write_b32 acc34, v7                      // 
v_accvgpr_write_b32 acc35, v8                      // 
s_mov_b64 s[32:33], 0xFFFFFFFFFFFFFFFF             // to restore all threads active
s_or_saveexec_b64 vcc, s[32:33]                    // all threads active
s_branch label_0134                                // done shifting


/******************************************/
/* shift d0 r=7 mb=0 vw0                  */
/******************************************/
label_0073: // r7 mb0 vw0 
s_mov_b32 s32, 0                                   // 
_v_cmpx_eq_u32 s[32:33], v4, s32                   // is thread in edge glvw region
v_and_b32 v0, 63, v[vgprSerial]                    // permute register between threads
v_lshlrev_b32 v0, 2, v0                            // permute register between threads
v_accvgpr_read_b32 v5, acc1                        // glvw 7 mb 0 tt1 0 r 0
v_accvgpr_read_b32 v6, acc2                        // glvw 7 mb 0 tt1 0 r 0
v_accvgpr_read_b32 v7, acc3                        // glvw 7 mb 0 tt1 0 r 0
v_accvgpr_read_b32 v8, acc0                        // glvw 7 mb 0 tt1 0 r 0
s_nop 1                                            // v_accvgpr read vgpr after write vgpr: 2 wait states
ds_bpermute_b32 v5, v0, v5, offset:128             // permute edge values
ds_bpermute_b32 v6, v0, v6, offset:128             // permute edge values
	;; [unrolled: 1-line block ×4, first 2 shown]
s_waitcnt 0                                        // wait for swizzle operation
v_accvgpr_write_b32 acc0, v5                       // 
v_accvgpr_write_b32 acc1, v6                       // 
v_accvgpr_write_b32 acc2, v7                       // 
v_accvgpr_write_b32 acc3, v8                       // 
v_accvgpr_read_b32 v5, acc13                       // glvw 7 mb 0 tt1 1 r 0
v_accvgpr_read_b32 v6, acc14                       // glvw 7 mb 0 tt1 1 r 0
v_accvgpr_read_b32 v7, acc15                       // glvw 7 mb 0 tt1 1 r 0
v_accvgpr_read_b32 v8, acc12                       // glvw 7 mb 0 tt1 1 r 0
s_nop 1                                            // v_accvgpr read vgpr after write vgpr: 2 wait states
ds_bpermute_b32 v5, v0, v5, offset:128             // permute edge values
ds_bpermute_b32 v6, v0, v6, offset:128             // permute edge values
	;; [unrolled: 1-line block ×4, first 2 shown]
s_waitcnt 0                                        // wait for swizzle operation
v_accvgpr_write_b32 acc12, v5                      // 
v_accvgpr_write_b32 acc13, v6                      // 
v_accvgpr_write_b32 acc14, v7                      // 
v_accvgpr_write_b32 acc15, v8                      // 
v_accvgpr_read_b32 v5, acc25                       // glvw 7 mb 0 tt1 2 r 0
v_accvgpr_read_b32 v6, acc26                       // glvw 7 mb 0 tt1 2 r 0
v_accvgpr_read_b32 v7, acc27                       // glvw 7 mb 0 tt1 2 r 0
v_accvgpr_read_b32 v8, acc24                       // glvw 7 mb 0 tt1 2 r 0
s_nop 1                                            // v_accvgpr read vgpr after write vgpr: 2 wait states
ds_bpermute_b32 v5, v0, v5, offset:128             // permute edge values
ds_bpermute_b32 v6, v0, v6, offset:128             // permute edge values
	;; [unrolled: 1-line block ×4, first 2 shown]
s_waitcnt 0                                        // wait for swizzle operation
v_accvgpr_write_b32 acc24, v5                      // 
v_accvgpr_write_b32 acc25, v6                      // 
v_accvgpr_write_b32 acc26, v7                      // 
v_accvgpr_write_b32 acc27, v8                      // 
s_mov_b64 s[32:33], 0xFFFFFFFFFFFFFFFF             // to restore all threads active
s_or_saveexec_b64 vcc, s[32:33]                    // all threads active
s_branch label_0134                                // done shifting


/******************************************/
/* shift d0 r=7 mb=1 vw0                  */
/******************************************/
label_0075: // r7 mb1 vw0 
s_mov_b32 s32, 2                                   // 
_v_cmpx_eq_u32 s[32:33], v4, s32                   // is thread in edge glvw region
v_and_b32 v0, 63, v[vgprSerial]                    // permute register between threads
v_lshlrev_b32 v0, 2, v0                            // permute register between threads
v_accvgpr_read_b32 v5, acc5                        // glvw 7 mb 1 tt1 0 r 0
v_accvgpr_read_b32 v6, acc6                        // glvw 7 mb 1 tt1 0 r 0
v_accvgpr_read_b32 v7, acc7                        // glvw 7 mb 1 tt1 0 r 0
v_accvgpr_read_b32 v8, acc4                        // glvw 7 mb 1 tt1 0 r 0
s_nop 1                                            // v_accvgpr read vgpr after write vgpr: 2 wait states
ds_bpermute_b32 v5, v0, v5, offset:128             // permute edge values
ds_bpermute_b32 v6, v0, v6, offset:128             // permute edge values
	;; [unrolled: 1-line block ×4, first 2 shown]
s_waitcnt 0                                        // wait for swizzle operation
v_accvgpr_write_b32 acc4, v5                       // 
v_accvgpr_write_b32 acc5, v6                       // 
v_accvgpr_write_b32 acc6, v7                       // 
v_accvgpr_write_b32 acc7, v8                       // 
v_accvgpr_read_b32 v5, acc17                       // glvw 7 mb 1 tt1 1 r 0
v_accvgpr_read_b32 v6, acc18                       // glvw 7 mb 1 tt1 1 r 0
v_accvgpr_read_b32 v7, acc19                       // glvw 7 mb 1 tt1 1 r 0
v_accvgpr_read_b32 v8, acc16                       // glvw 7 mb 1 tt1 1 r 0
s_nop 1                                            // v_accvgpr read vgpr after write vgpr: 2 wait states
ds_bpermute_b32 v5, v0, v5, offset:128             // permute edge values
ds_bpermute_b32 v6, v0, v6, offset:128             // permute edge values
	;; [unrolled: 1-line block ×4, first 2 shown]
s_waitcnt 0                                        // wait for swizzle operation
v_accvgpr_write_b32 acc16, v5                      // 
v_accvgpr_write_b32 acc17, v6                      // 
v_accvgpr_write_b32 acc18, v7                      // 
v_accvgpr_write_b32 acc19, v8                      // 
v_accvgpr_read_b32 v5, acc29                       // glvw 7 mb 1 tt1 2 r 0
v_accvgpr_read_b32 v6, acc30                       // glvw 7 mb 1 tt1 2 r 0
v_accvgpr_read_b32 v7, acc31                       // glvw 7 mb 1 tt1 2 r 0
v_accvgpr_read_b32 v8, acc28                       // glvw 7 mb 1 tt1 2 r 0
s_nop 1                                            // v_accvgpr read vgpr after write vgpr: 2 wait states
ds_bpermute_b32 v5, v0, v5, offset:128             // permute edge values
ds_bpermute_b32 v6, v0, v6, offset:128             // permute edge values
	;; [unrolled: 1-line block ×4, first 2 shown]
s_waitcnt 0                                        // wait for swizzle operation
v_accvgpr_write_b32 acc28, v5                      // 
v_accvgpr_write_b32 acc29, v6                      // 
v_accvgpr_write_b32 acc30, v7                      // 
v_accvgpr_write_b32 acc31, v8                      // 
s_mov_b64 s[32:33], 0xFFFFFFFFFFFFFFFF             // to restore all threads active
s_or_saveexec_b64 vcc, s[32:33]                    // all threads active
s_branch label_0134                                // done shifting


/******************************************/
/* shift d0 r=7 mb=2 vw0                  */
/******************************************/
label_0077: // r7 mb2 vw0 
s_mov_b32 s32, 4                                   // 
_v_cmpx_eq_u32 s[32:33], v4, s32                   // is thread in edge glvw region
v_and_b32 v0, 63, v[vgprSerial]                    // permute register between threads
v_lshlrev_b32 v0, 2, v0                            // permute register between threads
v_accvgpr_read_b32 v5, acc9                        // glvw 7 mb 2 tt1 0 r 0
v_accvgpr_read_b32 v6, acc10                       // glvw 7 mb 2 tt1 0 r 0
v_accvgpr_read_b32 v7, acc11                       // glvw 7 mb 2 tt1 0 r 0
v_accvgpr_read_b32 v8, acc8                        // glvw 7 mb 2 tt1 0 r 0
s_nop 1                                            // v_accvgpr read vgpr after write vgpr: 2 wait states
ds_bpermute_b32 v5, v0, v5, offset:128             // permute edge values
ds_bpermute_b32 v6, v0, v6, offset:128             // permute edge values
	;; [unrolled: 1-line block ×4, first 2 shown]
s_waitcnt 0                                        // wait for swizzle operation
v_accvgpr_write_b32 acc8, v5                       // 
v_accvgpr_write_b32 acc9, v6                       // 
v_accvgpr_write_b32 acc10, v7                      // 
v_accvgpr_write_b32 acc11, v8                      // 
v_accvgpr_read_b32 v5, acc21                       // glvw 7 mb 2 tt1 1 r 0
v_accvgpr_read_b32 v6, acc22                       // glvw 7 mb 2 tt1 1 r 0
v_accvgpr_read_b32 v7, acc23                       // glvw 7 mb 2 tt1 1 r 0
v_accvgpr_read_b32 v8, acc20                       // glvw 7 mb 2 tt1 1 r 0
s_nop 1                                            // v_accvgpr read vgpr after write vgpr: 2 wait states
ds_bpermute_b32 v5, v0, v5, offset:128             // permute edge values
ds_bpermute_b32 v6, v0, v6, offset:128             // permute edge values
	;; [unrolled: 1-line block ×4, first 2 shown]
s_waitcnt 0                                        // wait for swizzle operation
v_accvgpr_write_b32 acc20, v5                      // 
v_accvgpr_write_b32 acc21, v6                      // 
v_accvgpr_write_b32 acc22, v7                      // 
v_accvgpr_write_b32 acc23, v8                      // 
v_accvgpr_read_b32 v5, acc33                       // glvw 7 mb 2 tt1 2 r 0
v_accvgpr_read_b32 v6, acc34                       // glvw 7 mb 2 tt1 2 r 0
v_accvgpr_read_b32 v7, acc35                       // glvw 7 mb 2 tt1 2 r 0
v_accvgpr_read_b32 v8, acc32                       // glvw 7 mb 2 tt1 2 r 0
s_nop 1                                            // v_accvgpr read vgpr after write vgpr: 2 wait states
ds_bpermute_b32 v5, v0, v5, offset:128             // permute edge values
ds_bpermute_b32 v6, v0, v6, offset:128             // permute edge values
	;; [unrolled: 1-line block ×4, first 2 shown]
s_waitcnt 0                                        // wait for swizzle operation
v_accvgpr_write_b32 acc32, v5                      // 
v_accvgpr_write_b32 acc33, v6                      // 
v_accvgpr_write_b32 acc34, v7                      // 
v_accvgpr_write_b32 acc35, v8                      // 
s_mov_b64 s[32:33], 0xFFFFFFFFFFFFFFFF             // to restore all threads active
s_or_saveexec_b64 vcc, s[32:33]                    // all threads active
s_branch label_0134                                // done shifting


/******************************************/
/* shift d0 r=8 mb=0 vw0                  */
/******************************************/
label_0080: // r8 mb0 vw0 
s_mov_b32 s32, 0                                   // 
_v_cmpx_eq_u32 s[32:33], v4, s32                   // is thread in edge glvw region
v_and_b32 v0, 63, v[vgprSerial]                    // permute register between threads
v_lshlrev_b32 v0, 2, v0                            // permute register between threads
v_accvgpr_read_b32 v5, acc0                        // glvw 8 mb 0 tt1 0 r 0
v_accvgpr_read_b32 v6, acc1                        // glvw 8 mb 0 tt1 0 r 0
v_accvgpr_read_b32 v7, acc2                        // glvw 8 mb 0 tt1 0 r 0
v_accvgpr_read_b32 v8, acc3                        // glvw 8 mb 0 tt1 0 r 0
s_nop 1                                            // v_accvgpr read vgpr after write vgpr: 2 wait states
ds_bpermute_b32 v5, v0, v5, offset:128             // permute edge values
ds_bpermute_b32 v6, v0, v6, offset:128             // permute edge values
	;; [unrolled: 1-line block ×4, first 2 shown]
s_waitcnt 0                                        // wait for swizzle operation
v_accvgpr_write_b32 acc0, v5                       // 
v_accvgpr_write_b32 acc1, v6                       // 
v_accvgpr_write_b32 acc2, v7                       // 
v_accvgpr_write_b32 acc3, v8                       // 
v_accvgpr_read_b32 v5, acc12                       // glvw 8 mb 0 tt1 1 r 0
v_accvgpr_read_b32 v6, acc13                       // glvw 8 mb 0 tt1 1 r 0
v_accvgpr_read_b32 v7, acc14                       // glvw 8 mb 0 tt1 1 r 0
v_accvgpr_read_b32 v8, acc15                       // glvw 8 mb 0 tt1 1 r 0
s_nop 1                                            // v_accvgpr read vgpr after write vgpr: 2 wait states
ds_bpermute_b32 v5, v0, v5, offset:128             // permute edge values
ds_bpermute_b32 v6, v0, v6, offset:128             // permute edge values
	;; [unrolled: 1-line block ×4, first 2 shown]
s_waitcnt 0                                        // wait for swizzle operation
v_accvgpr_write_b32 acc12, v5                      // 
v_accvgpr_write_b32 acc13, v6                      // 
v_accvgpr_write_b32 acc14, v7                      // 
v_accvgpr_write_b32 acc15, v8                      // 
v_accvgpr_read_b32 v5, acc24                       // glvw 8 mb 0 tt1 2 r 0
v_accvgpr_read_b32 v6, acc25                       // glvw 8 mb 0 tt1 2 r 0
v_accvgpr_read_b32 v7, acc26                       // glvw 8 mb 0 tt1 2 r 0
v_accvgpr_read_b32 v8, acc27                       // glvw 8 mb 0 tt1 2 r 0
s_nop 1                                            // v_accvgpr read vgpr after write vgpr: 2 wait states
ds_bpermute_b32 v5, v0, v5, offset:128             // permute edge values
ds_bpermute_b32 v6, v0, v6, offset:128             // permute edge values
	;; [unrolled: 1-line block ×4, first 2 shown]
s_waitcnt 0                                        // wait for swizzle operation
v_accvgpr_write_b32 acc24, v5                      // 
v_accvgpr_write_b32 acc25, v6                      // 
v_accvgpr_write_b32 acc26, v7                      // 
v_accvgpr_write_b32 acc27, v8                      // 
s_mov_b64 s[32:33], 0xFFFFFFFFFFFFFFFF             // to restore all threads active
s_or_saveexec_b64 vcc, s[32:33]                    // all threads active
s_branch label_0134                                // done shifting


/******************************************/
/* shift d0 r=8 mb=1 vw0                  */
/******************************************/
label_0082: // r8 mb1 vw0 
s_mov_b32 s32, 2                                   // 
_v_cmpx_eq_u32 s[32:33], v4, s32                   // is thread in edge glvw region
v_and_b32 v0, 63, v[vgprSerial]                    // permute register between threads
v_lshlrev_b32 v0, 2, v0                            // permute register between threads
v_accvgpr_read_b32 v5, acc4                        // glvw 8 mb 1 tt1 0 r 0
v_accvgpr_read_b32 v6, acc5                        // glvw 8 mb 1 tt1 0 r 0
v_accvgpr_read_b32 v7, acc6                        // glvw 8 mb 1 tt1 0 r 0
v_accvgpr_read_b32 v8, acc7                        // glvw 8 mb 1 tt1 0 r 0
s_nop 1                                            // v_accvgpr read vgpr after write vgpr: 2 wait states
ds_bpermute_b32 v5, v0, v5, offset:128             // permute edge values
ds_bpermute_b32 v6, v0, v6, offset:128             // permute edge values
	;; [unrolled: 1-line block ×4, first 2 shown]
s_waitcnt 0                                        // wait for swizzle operation
v_accvgpr_write_b32 acc4, v5                       // 
v_accvgpr_write_b32 acc5, v6                       // 
v_accvgpr_write_b32 acc6, v7                       // 
v_accvgpr_write_b32 acc7, v8                       // 
v_accvgpr_read_b32 v5, acc16                       // glvw 8 mb 1 tt1 1 r 0
v_accvgpr_read_b32 v6, acc17                       // glvw 8 mb 1 tt1 1 r 0
v_accvgpr_read_b32 v7, acc18                       // glvw 8 mb 1 tt1 1 r 0
v_accvgpr_read_b32 v8, acc19                       // glvw 8 mb 1 tt1 1 r 0
s_nop 1                                            // v_accvgpr read vgpr after write vgpr: 2 wait states
ds_bpermute_b32 v5, v0, v5, offset:128             // permute edge values
ds_bpermute_b32 v6, v0, v6, offset:128             // permute edge values
	;; [unrolled: 1-line block ×4, first 2 shown]
s_waitcnt 0                                        // wait for swizzle operation
v_accvgpr_write_b32 acc16, v5                      // 
v_accvgpr_write_b32 acc17, v6                      // 
v_accvgpr_write_b32 acc18, v7                      // 
v_accvgpr_write_b32 acc19, v8                      // 
v_accvgpr_read_b32 v5, acc28                       // glvw 8 mb 1 tt1 2 r 0
v_accvgpr_read_b32 v6, acc29                       // glvw 8 mb 1 tt1 2 r 0
v_accvgpr_read_b32 v7, acc30                       // glvw 8 mb 1 tt1 2 r 0
v_accvgpr_read_b32 v8, acc31                       // glvw 8 mb 1 tt1 2 r 0
s_nop 1                                            // v_accvgpr read vgpr after write vgpr: 2 wait states
ds_bpermute_b32 v5, v0, v5, offset:128             // permute edge values
ds_bpermute_b32 v6, v0, v6, offset:128             // permute edge values
ds_bpermute_b32 v7, v0, v7, offset:128             // permute edge values
ds_bpermute_b32 v8, v0, v8, offset:128             // permute edge values
s_waitcnt 0                                        // wait for swizzle operation
v_accvgpr_write_b32 acc28, v5                      // 
v_accvgpr_write_b32 acc29, v6                      // 
v_accvgpr_write_b32 acc30, v7                      // 
v_accvgpr_write_b32 acc31, v8                      // 
s_mov_b64 s[32:33], 0xFFFFFFFFFFFFFFFF             // to restore all threads active
s_or_saveexec_b64 vcc, s[32:33]                    // all threads active
s_branch label_0134                                // done shifting


/******************************************/
/* shift d0 r=8 mb=2 vw0                  */
/******************************************/
label_0084: // r8 mb2 vw0 
s_mov_b32 s32, 4                                   // 
_v_cmpx_eq_u32 s[32:33], v4, s32                   // is thread in edge glvw region
v_and_b32 v0, 63, v[vgprSerial]                    // permute register between threads
v_lshlrev_b32 v0, 2, v0                            // permute register between threads
v_accvgpr_read_b32 v5, acc8                        // glvw 8 mb 2 tt1 0 r 0
v_accvgpr_read_b32 v6, acc9                        // glvw 8 mb 2 tt1 0 r 0
v_accvgpr_read_b32 v7, acc10                       // glvw 8 mb 2 tt1 0 r 0
v_accvgpr_read_b32 v8, acc11                       // glvw 8 mb 2 tt1 0 r 0
s_nop 1                                            // v_accvgpr read vgpr after write vgpr: 2 wait states
ds_bpermute_b32 v5, v0, v5, offset:128             // permute edge values
ds_bpermute_b32 v6, v0, v6, offset:128             // permute edge values
	;; [unrolled: 1-line block ×4, first 2 shown]
s_waitcnt 0                                        // wait for swizzle operation
v_accvgpr_write_b32 acc8, v5                       // 
v_accvgpr_write_b32 acc9, v6                       // 
v_accvgpr_write_b32 acc10, v7                      // 
v_accvgpr_write_b32 acc11, v8                      // 
v_accvgpr_read_b32 v5, acc20                       // glvw 8 mb 2 tt1 1 r 0
v_accvgpr_read_b32 v6, acc21                       // glvw 8 mb 2 tt1 1 r 0
v_accvgpr_read_b32 v7, acc22                       // glvw 8 mb 2 tt1 1 r 0
v_accvgpr_read_b32 v8, acc23                       // glvw 8 mb 2 tt1 1 r 0
s_nop 1                                            // v_accvgpr read vgpr after write vgpr: 2 wait states
ds_bpermute_b32 v5, v0, v5, offset:128             // permute edge values
ds_bpermute_b32 v6, v0, v6, offset:128             // permute edge values
	;; [unrolled: 1-line block ×4, first 2 shown]
s_waitcnt 0                                        // wait for swizzle operation
v_accvgpr_write_b32 acc20, v5                      // 
v_accvgpr_write_b32 acc21, v6                      // 
v_accvgpr_write_b32 acc22, v7                      // 
v_accvgpr_write_b32 acc23, v8                      // 
v_accvgpr_read_b32 v5, acc32                       // glvw 8 mb 2 tt1 2 r 0
v_accvgpr_read_b32 v6, acc33                       // glvw 8 mb 2 tt1 2 r 0
v_accvgpr_read_b32 v7, acc34                       // glvw 8 mb 2 tt1 2 r 0
v_accvgpr_read_b32 v8, acc35                       // glvw 8 mb 2 tt1 2 r 0
s_nop 1                                            // v_accvgpr read vgpr after write vgpr: 2 wait states
ds_bpermute_b32 v5, v0, v5, offset:128             // permute edge values
ds_bpermute_b32 v6, v0, v6, offset:128             // permute edge values
	;; [unrolled: 1-line block ×4, first 2 shown]
s_waitcnt 0                                        // wait for swizzle operation
v_accvgpr_write_b32 acc32, v5                      // 
v_accvgpr_write_b32 acc33, v6                      // 
v_accvgpr_write_b32 acc34, v7                      // 
v_accvgpr_write_b32 acc35, v8                      // 
s_mov_b64 s[32:33], 0xFFFFFFFFFFFFFFFF             // to restore all threads active
s_or_saveexec_b64 vcc, s[32:33]                    // all threads active
s_branch label_0134                                // done shifting


/******************************************/
/* shift d0 r=9 mb=0 vw0                  */
/******************************************/
label_0087: // r9 mb0 vw0 
s_mov_b32 s32, 0                                   // 
_v_cmpx_eq_u32 s[32:33], v4, s32                   // is thread in edge glvw region
v_and_b32 v0, 63, v[vgprSerial]                    // permute register between threads
v_lshlrev_b32 v0, 2, v0                            // permute register between threads
v_accvgpr_read_b32 v5, acc3                        // glvw 9 mb 0 tt1 0 r 0
v_accvgpr_read_b32 v6, acc0                        // glvw 9 mb 0 tt1 0 r 0
v_accvgpr_read_b32 v7, acc1                        // glvw 9 mb 0 tt1 0 r 0
v_accvgpr_read_b32 v8, acc2                        // glvw 9 mb 0 tt1 0 r 0
s_nop 1                                            // v_accvgpr read vgpr after write vgpr: 2 wait states
ds_bpermute_b32 v5, v0, v5, offset:64              // permute edge values
ds_bpermute_b32 v6, v0, v6, offset:128             // permute edge values
ds_bpermute_b32 v7, v0, v7, offset:128             // permute edge values
	;; [unrolled: 1-line block ×3, first 2 shown]
s_waitcnt 0                                        // wait for swizzle operation
v_accvgpr_write_b32 acc0, v5                       // 
v_accvgpr_write_b32 acc1, v6                       // 
v_accvgpr_write_b32 acc2, v7                       // 
v_accvgpr_write_b32 acc3, v8                       // 
v_accvgpr_read_b32 v5, acc15                       // glvw 9 mb 0 tt1 1 r 0
v_accvgpr_read_b32 v6, acc12                       // glvw 9 mb 0 tt1 1 r 0
v_accvgpr_read_b32 v7, acc13                       // glvw 9 mb 0 tt1 1 r 0
v_accvgpr_read_b32 v8, acc14                       // glvw 9 mb 0 tt1 1 r 0
s_nop 1                                            // v_accvgpr read vgpr after write vgpr: 2 wait states
ds_bpermute_b32 v5, v0, v5, offset:64              // permute edge values
ds_bpermute_b32 v6, v0, v6, offset:128             // permute edge values
ds_bpermute_b32 v7, v0, v7, offset:128             // permute edge values
	;; [unrolled: 1-line block ×3, first 2 shown]
s_waitcnt 0                                        // wait for swizzle operation
v_accvgpr_write_b32 acc12, v5                      // 
v_accvgpr_write_b32 acc13, v6                      // 
v_accvgpr_write_b32 acc14, v7                      // 
v_accvgpr_write_b32 acc15, v8                      // 
v_accvgpr_read_b32 v5, acc27                       // glvw 9 mb 0 tt1 2 r 0
v_accvgpr_read_b32 v6, acc24                       // glvw 9 mb 0 tt1 2 r 0
v_accvgpr_read_b32 v7, acc25                       // glvw 9 mb 0 tt1 2 r 0
v_accvgpr_read_b32 v8, acc26                       // glvw 9 mb 0 tt1 2 r 0
s_nop 1                                            // v_accvgpr read vgpr after write vgpr: 2 wait states
ds_bpermute_b32 v5, v0, v5, offset:64              // permute edge values
ds_bpermute_b32 v6, v0, v6, offset:128             // permute edge values
ds_bpermute_b32 v7, v0, v7, offset:128             // permute edge values
	;; [unrolled: 1-line block ×3, first 2 shown]
s_waitcnt 0                                        // wait for swizzle operation
v_accvgpr_write_b32 acc24, v5                      // 
v_accvgpr_write_b32 acc25, v6                      // 
v_accvgpr_write_b32 acc26, v7                      // 
v_accvgpr_write_b32 acc27, v8                      // 
s_mov_b64 s[32:33], 0xFFFFFFFFFFFFFFFF             // to restore all threads active
s_or_saveexec_b64 vcc, s[32:33]                    // all threads active
s_branch label_0134                                // done shifting


/******************************************/
/* shift d0 r=9 mb=1 vw0                  */
/******************************************/
label_0089: // r9 mb1 vw0 
s_mov_b32 s32, 2                                   // 
_v_cmpx_eq_u32 s[32:33], v4, s32                   // is thread in edge glvw region
v_and_b32 v0, 63, v[vgprSerial]                    // permute register between threads
v_lshlrev_b32 v0, 2, v0                            // permute register between threads
v_accvgpr_read_b32 v5, acc7                        // glvw 9 mb 1 tt1 0 r 0
v_accvgpr_read_b32 v6, acc4                        // glvw 9 mb 1 tt1 0 r 0
v_accvgpr_read_b32 v7, acc5                        // glvw 9 mb 1 tt1 0 r 0
v_accvgpr_read_b32 v8, acc6                        // glvw 9 mb 1 tt1 0 r 0
s_nop 1                                            // v_accvgpr read vgpr after write vgpr: 2 wait states
ds_bpermute_b32 v5, v0, v5, offset:64              // permute edge values
ds_bpermute_b32 v6, v0, v6, offset:128             // permute edge values
ds_bpermute_b32 v7, v0, v7, offset:128             // permute edge values
	;; [unrolled: 1-line block ×3, first 2 shown]
s_waitcnt 0                                        // wait for swizzle operation
v_accvgpr_write_b32 acc4, v5                       // 
v_accvgpr_write_b32 acc5, v6                       // 
v_accvgpr_write_b32 acc6, v7                       // 
v_accvgpr_write_b32 acc7, v8                       // 
v_accvgpr_read_b32 v5, acc19                       // glvw 9 mb 1 tt1 1 r 0
v_accvgpr_read_b32 v6, acc16                       // glvw 9 mb 1 tt1 1 r 0
v_accvgpr_read_b32 v7, acc17                       // glvw 9 mb 1 tt1 1 r 0
v_accvgpr_read_b32 v8, acc18                       // glvw 9 mb 1 tt1 1 r 0
s_nop 1                                            // v_accvgpr read vgpr after write vgpr: 2 wait states
ds_bpermute_b32 v5, v0, v5, offset:64              // permute edge values
ds_bpermute_b32 v6, v0, v6, offset:128             // permute edge values
ds_bpermute_b32 v7, v0, v7, offset:128             // permute edge values
	;; [unrolled: 1-line block ×3, first 2 shown]
s_waitcnt 0                                        // wait for swizzle operation
v_accvgpr_write_b32 acc16, v5                      // 
v_accvgpr_write_b32 acc17, v6                      // 
v_accvgpr_write_b32 acc18, v7                      // 
v_accvgpr_write_b32 acc19, v8                      // 
v_accvgpr_read_b32 v5, acc31                       // glvw 9 mb 1 tt1 2 r 0
v_accvgpr_read_b32 v6, acc28                       // glvw 9 mb 1 tt1 2 r 0
v_accvgpr_read_b32 v7, acc29                       // glvw 9 mb 1 tt1 2 r 0
v_accvgpr_read_b32 v8, acc30                       // glvw 9 mb 1 tt1 2 r 0
s_nop 1                                            // v_accvgpr read vgpr after write vgpr: 2 wait states
ds_bpermute_b32 v5, v0, v5, offset:64              // permute edge values
ds_bpermute_b32 v6, v0, v6, offset:128             // permute edge values
ds_bpermute_b32 v7, v0, v7, offset:128             // permute edge values
	;; [unrolled: 1-line block ×3, first 2 shown]
s_waitcnt 0                                        // wait for swizzle operation
v_accvgpr_write_b32 acc28, v5                      // 
v_accvgpr_write_b32 acc29, v6                      // 
v_accvgpr_write_b32 acc30, v7                      // 
v_accvgpr_write_b32 acc31, v8                      // 
s_mov_b64 s[32:33], 0xFFFFFFFFFFFFFFFF             // to restore all threads active
s_or_saveexec_b64 vcc, s[32:33]                    // all threads active
s_branch label_0134                                // done shifting


/******************************************/
/* shift d0 r=9 mb=2 vw0                  */
/******************************************/
label_0091: // r9 mb2 vw0 
s_mov_b32 s32, 4                                   // 
_v_cmpx_eq_u32 s[32:33], v4, s32                   // is thread in edge glvw region
v_and_b32 v0, 63, v[vgprSerial]                    // permute register between threads
v_lshlrev_b32 v0, 2, v0                            // permute register between threads
v_accvgpr_read_b32 v5, acc11                       // glvw 9 mb 2 tt1 0 r 0
v_accvgpr_read_b32 v6, acc8                        // glvw 9 mb 2 tt1 0 r 0
v_accvgpr_read_b32 v7, acc9                        // glvw 9 mb 2 tt1 0 r 0
v_accvgpr_read_b32 v8, acc10                       // glvw 9 mb 2 tt1 0 r 0
s_nop 1                                            // v_accvgpr read vgpr after write vgpr: 2 wait states
ds_bpermute_b32 v5, v0, v5, offset:64              // permute edge values
ds_bpermute_b32 v6, v0, v6, offset:128             // permute edge values
ds_bpermute_b32 v7, v0, v7, offset:128             // permute edge values
	;; [unrolled: 1-line block ×3, first 2 shown]
s_waitcnt 0                                        // wait for swizzle operation
v_accvgpr_write_b32 acc8, v5                       // 
v_accvgpr_write_b32 acc9, v6                       // 
v_accvgpr_write_b32 acc10, v7                      // 
v_accvgpr_write_b32 acc11, v8                      // 
v_accvgpr_read_b32 v5, acc23                       // glvw 9 mb 2 tt1 1 r 0
v_accvgpr_read_b32 v6, acc20                       // glvw 9 mb 2 tt1 1 r 0
v_accvgpr_read_b32 v7, acc21                       // glvw 9 mb 2 tt1 1 r 0
v_accvgpr_read_b32 v8, acc22                       // glvw 9 mb 2 tt1 1 r 0
s_nop 1                                            // v_accvgpr read vgpr after write vgpr: 2 wait states
ds_bpermute_b32 v5, v0, v5, offset:64              // permute edge values
ds_bpermute_b32 v6, v0, v6, offset:128             // permute edge values
ds_bpermute_b32 v7, v0, v7, offset:128             // permute edge values
	;; [unrolled: 1-line block ×3, first 2 shown]
s_waitcnt 0                                        // wait for swizzle operation
v_accvgpr_write_b32 acc20, v5                      // 
v_accvgpr_write_b32 acc21, v6                      // 
v_accvgpr_write_b32 acc22, v7                      // 
v_accvgpr_write_b32 acc23, v8                      // 
v_accvgpr_read_b32 v5, acc35                       // glvw 9 mb 2 tt1 2 r 0
v_accvgpr_read_b32 v6, acc32                       // glvw 9 mb 2 tt1 2 r 0
v_accvgpr_read_b32 v7, acc33                       // glvw 9 mb 2 tt1 2 r 0
v_accvgpr_read_b32 v8, acc34                       // glvw 9 mb 2 tt1 2 r 0
s_nop 1                                            // v_accvgpr read vgpr after write vgpr: 2 wait states
ds_bpermute_b32 v5, v0, v5, offset:64              // permute edge values
ds_bpermute_b32 v6, v0, v6, offset:128             // permute edge values
ds_bpermute_b32 v7, v0, v7, offset:128             // permute edge values
	;; [unrolled: 1-line block ×3, first 2 shown]
s_waitcnt 0                                        // wait for swizzle operation
v_accvgpr_write_b32 acc32, v5                      // 
v_accvgpr_write_b32 acc33, v6                      // 
v_accvgpr_write_b32 acc34, v7                      // 
v_accvgpr_write_b32 acc35, v8                      // 
s_mov_b64 s[32:33], 0xFFFFFFFFFFFFFFFF             // to restore all threads active
s_or_saveexec_b64 vcc, s[32:33]                    // all threads active
s_branch label_0134                                // done shifting


/******************************************/
/* shift d0 r=10 mb=0 vw0                 */
/******************************************/
label_0094: // r10 mb0 vw0 
s_mov_b32 s32, 0                                   // 
_v_cmpx_eq_u32 s[32:33], v4, s32                   // is thread in edge glvw region
v_and_b32 v0, 63, v[vgprSerial]                    // permute register between threads
v_lshlrev_b32 v0, 2, v0                            // permute register between threads
v_accvgpr_read_b32 v5, acc2                        // glvw 10 mb 0 tt1 0 r 0
v_accvgpr_read_b32 v6, acc3                        // glvw 10 mb 0 tt1 0 r 0
v_accvgpr_read_b32 v7, acc0                        // glvw 10 mb 0 tt1 0 r 0
v_accvgpr_read_b32 v8, acc1                        // glvw 10 mb 0 tt1 0 r 0
s_nop 1                                            // v_accvgpr read vgpr after write vgpr: 2 wait states
ds_bpermute_b32 v5, v0, v5, offset:64              // permute edge values
ds_bpermute_b32 v6, v0, v6, offset:64              // permute edge values
ds_bpermute_b32 v7, v0, v7, offset:128             // permute edge values
ds_bpermute_b32 v8, v0, v8, offset:128             // permute edge values
s_waitcnt 0                                        // wait for swizzle operation
v_accvgpr_write_b32 acc0, v5                       // 
v_accvgpr_write_b32 acc1, v6                       // 
v_accvgpr_write_b32 acc2, v7                       // 
v_accvgpr_write_b32 acc3, v8                       // 
v_accvgpr_read_b32 v5, acc14                       // glvw 10 mb 0 tt1 1 r 0
v_accvgpr_read_b32 v6, acc15                       // glvw 10 mb 0 tt1 1 r 0
v_accvgpr_read_b32 v7, acc12                       // glvw 10 mb 0 tt1 1 r 0
v_accvgpr_read_b32 v8, acc13                       // glvw 10 mb 0 tt1 1 r 0
s_nop 1                                            // v_accvgpr read vgpr after write vgpr: 2 wait states
ds_bpermute_b32 v5, v0, v5, offset:64              // permute edge values
ds_bpermute_b32 v6, v0, v6, offset:64              // permute edge values
ds_bpermute_b32 v7, v0, v7, offset:128             // permute edge values
ds_bpermute_b32 v8, v0, v8, offset:128             // permute edge values
s_waitcnt 0                                        // wait for swizzle operation
v_accvgpr_write_b32 acc12, v5                      // 
v_accvgpr_write_b32 acc13, v6                      // 
v_accvgpr_write_b32 acc14, v7                      // 
v_accvgpr_write_b32 acc15, v8                      // 
v_accvgpr_read_b32 v5, acc26                       // glvw 10 mb 0 tt1 2 r 0
v_accvgpr_read_b32 v6, acc27                       // glvw 10 mb 0 tt1 2 r 0
v_accvgpr_read_b32 v7, acc24                       // glvw 10 mb 0 tt1 2 r 0
v_accvgpr_read_b32 v8, acc25                       // glvw 10 mb 0 tt1 2 r 0
s_nop 1                                            // v_accvgpr read vgpr after write vgpr: 2 wait states
ds_bpermute_b32 v5, v0, v5, offset:64              // permute edge values
ds_bpermute_b32 v6, v0, v6, offset:64              // permute edge values
ds_bpermute_b32 v7, v0, v7, offset:128             // permute edge values
ds_bpermute_b32 v8, v0, v8, offset:128             // permute edge values
s_waitcnt 0                                        // wait for swizzle operation
v_accvgpr_write_b32 acc24, v5                      // 
v_accvgpr_write_b32 acc25, v6                      // 
v_accvgpr_write_b32 acc26, v7                      // 
v_accvgpr_write_b32 acc27, v8                      // 
s_mov_b64 s[32:33], 0xFFFFFFFFFFFFFFFF             // to restore all threads active
s_or_saveexec_b64 vcc, s[32:33]                    // all threads active
s_branch label_0134                                // done shifting


/******************************************/
/* shift d0 r=10 mb=1 vw0                 */
/******************************************/
label_0096: // r10 mb1 vw0 
s_mov_b32 s32, 2                                   // 
_v_cmpx_eq_u32 s[32:33], v4, s32                   // is thread in edge glvw region
v_and_b32 v0, 63, v[vgprSerial]                    // permute register between threads
v_lshlrev_b32 v0, 2, v0                            // permute register between threads
v_accvgpr_read_b32 v5, acc6                        // glvw 10 mb 1 tt1 0 r 0
v_accvgpr_read_b32 v6, acc7                        // glvw 10 mb 1 tt1 0 r 0
v_accvgpr_read_b32 v7, acc4                        // glvw 10 mb 1 tt1 0 r 0
v_accvgpr_read_b32 v8, acc5                        // glvw 10 mb 1 tt1 0 r 0
s_nop 1                                            // v_accvgpr read vgpr after write vgpr: 2 wait states
ds_bpermute_b32 v5, v0, v5, offset:64              // permute edge values
ds_bpermute_b32 v6, v0, v6, offset:64              // permute edge values
ds_bpermute_b32 v7, v0, v7, offset:128             // permute edge values
ds_bpermute_b32 v8, v0, v8, offset:128             // permute edge values
s_waitcnt 0                                        // wait for swizzle operation
v_accvgpr_write_b32 acc4, v5                       // 
v_accvgpr_write_b32 acc5, v6                       // 
v_accvgpr_write_b32 acc6, v7                       // 
v_accvgpr_write_b32 acc7, v8                       // 
v_accvgpr_read_b32 v5, acc18                       // glvw 10 mb 1 tt1 1 r 0
v_accvgpr_read_b32 v6, acc19                       // glvw 10 mb 1 tt1 1 r 0
v_accvgpr_read_b32 v7, acc16                       // glvw 10 mb 1 tt1 1 r 0
v_accvgpr_read_b32 v8, acc17                       // glvw 10 mb 1 tt1 1 r 0
s_nop 1                                            // v_accvgpr read vgpr after write vgpr: 2 wait states
ds_bpermute_b32 v5, v0, v5, offset:64              // permute edge values
ds_bpermute_b32 v6, v0, v6, offset:64              // permute edge values
ds_bpermute_b32 v7, v0, v7, offset:128             // permute edge values
ds_bpermute_b32 v8, v0, v8, offset:128             // permute edge values
s_waitcnt 0                                        // wait for swizzle operation
v_accvgpr_write_b32 acc16, v5                      // 
v_accvgpr_write_b32 acc17, v6                      // 
v_accvgpr_write_b32 acc18, v7                      // 
v_accvgpr_write_b32 acc19, v8                      // 
v_accvgpr_read_b32 v5, acc30                       // glvw 10 mb 1 tt1 2 r 0
v_accvgpr_read_b32 v6, acc31                       // glvw 10 mb 1 tt1 2 r 0
v_accvgpr_read_b32 v7, acc28                       // glvw 10 mb 1 tt1 2 r 0
v_accvgpr_read_b32 v8, acc29                       // glvw 10 mb 1 tt1 2 r 0
s_nop 1                                            // v_accvgpr read vgpr after write vgpr: 2 wait states
ds_bpermute_b32 v5, v0, v5, offset:64              // permute edge values
ds_bpermute_b32 v6, v0, v6, offset:64              // permute edge values
ds_bpermute_b32 v7, v0, v7, offset:128             // permute edge values
ds_bpermute_b32 v8, v0, v8, offset:128             // permute edge values
s_waitcnt 0                                        // wait for swizzle operation
v_accvgpr_write_b32 acc28, v5                      // 
v_accvgpr_write_b32 acc29, v6                      // 
v_accvgpr_write_b32 acc30, v7                      // 
v_accvgpr_write_b32 acc31, v8                      // 
s_mov_b64 s[32:33], 0xFFFFFFFFFFFFFFFF             // to restore all threads active
s_or_saveexec_b64 vcc, s[32:33]                    // all threads active
s_branch label_0134                                // done shifting


/******************************************/
/* shift d0 r=10 mb=2 vw0                 */
/******************************************/
label_0098: // r10 mb2 vw0 
s_mov_b32 s32, 4                                   // 
_v_cmpx_eq_u32 s[32:33], v4, s32                   // is thread in edge glvw region
v_and_b32 v0, 63, v[vgprSerial]                    // permute register between threads
v_lshlrev_b32 v0, 2, v0                            // permute register between threads
v_accvgpr_read_b32 v5, acc10                       // glvw 10 mb 2 tt1 0 r 0
v_accvgpr_read_b32 v6, acc11                       // glvw 10 mb 2 tt1 0 r 0
v_accvgpr_read_b32 v7, acc8                        // glvw 10 mb 2 tt1 0 r 0
v_accvgpr_read_b32 v8, acc9                        // glvw 10 mb 2 tt1 0 r 0
s_nop 1                                            // v_accvgpr read vgpr after write vgpr: 2 wait states
ds_bpermute_b32 v5, v0, v5, offset:64              // permute edge values
ds_bpermute_b32 v6, v0, v6, offset:64              // permute edge values
ds_bpermute_b32 v7, v0, v7, offset:128             // permute edge values
ds_bpermute_b32 v8, v0, v8, offset:128             // permute edge values
s_waitcnt 0                                        // wait for swizzle operation
v_accvgpr_write_b32 acc8, v5                       // 
v_accvgpr_write_b32 acc9, v6                       // 
v_accvgpr_write_b32 acc10, v7                      // 
v_accvgpr_write_b32 acc11, v8                      // 
v_accvgpr_read_b32 v5, acc22                       // glvw 10 mb 2 tt1 1 r 0
v_accvgpr_read_b32 v6, acc23                       // glvw 10 mb 2 tt1 1 r 0
v_accvgpr_read_b32 v7, acc20                       // glvw 10 mb 2 tt1 1 r 0
v_accvgpr_read_b32 v8, acc21                       // glvw 10 mb 2 tt1 1 r 0
s_nop 1                                            // v_accvgpr read vgpr after write vgpr: 2 wait states
ds_bpermute_b32 v5, v0, v5, offset:64              // permute edge values
ds_bpermute_b32 v6, v0, v6, offset:64              // permute edge values
ds_bpermute_b32 v7, v0, v7, offset:128             // permute edge values
ds_bpermute_b32 v8, v0, v8, offset:128             // permute edge values
s_waitcnt 0                                        // wait for swizzle operation
v_accvgpr_write_b32 acc20, v5                      // 
v_accvgpr_write_b32 acc21, v6                      // 
v_accvgpr_write_b32 acc22, v7                      // 
v_accvgpr_write_b32 acc23, v8                      // 
v_accvgpr_read_b32 v5, acc34                       // glvw 10 mb 2 tt1 2 r 0
v_accvgpr_read_b32 v6, acc35                       // glvw 10 mb 2 tt1 2 r 0
v_accvgpr_read_b32 v7, acc32                       // glvw 10 mb 2 tt1 2 r 0
v_accvgpr_read_b32 v8, acc33                       // glvw 10 mb 2 tt1 2 r 0
s_nop 1                                            // v_accvgpr read vgpr after write vgpr: 2 wait states
ds_bpermute_b32 v5, v0, v5, offset:64              // permute edge values
ds_bpermute_b32 v6, v0, v6, offset:64              // permute edge values
ds_bpermute_b32 v7, v0, v7, offset:128             // permute edge values
ds_bpermute_b32 v8, v0, v8, offset:128             // permute edge values
s_waitcnt 0                                        // wait for swizzle operation
v_accvgpr_write_b32 acc32, v5                      // 
v_accvgpr_write_b32 acc33, v6                      // 
v_accvgpr_write_b32 acc34, v7                      // 
v_accvgpr_write_b32 acc35, v8                      // 
s_mov_b64 s[32:33], 0xFFFFFFFFFFFFFFFF             // to restore all threads active
s_or_saveexec_b64 vcc, s[32:33]                    // all threads active
s_branch label_0134                                // done shifting


/******************************************/
/* shift d0 r=11 mb=0 vw0                 */
/******************************************/
label_0101: // r11 mb0 vw0 
s_mov_b32 s32, 0                                   // 
_v_cmpx_eq_u32 s[32:33], v4, s32                   // is thread in edge glvw region
v_and_b32 v0, 63, v[vgprSerial]                    // permute register between threads
v_lshlrev_b32 v0, 2, v0                            // permute register between threads
v_accvgpr_read_b32 v5, acc1                        // glvw 11 mb 0 tt1 0 r 0
v_accvgpr_read_b32 v6, acc2                        // glvw 11 mb 0 tt1 0 r 0
v_accvgpr_read_b32 v7, acc3                        // glvw 11 mb 0 tt1 0 r 0
v_accvgpr_read_b32 v8, acc0                        // glvw 11 mb 0 tt1 0 r 0
s_nop 1                                            // v_accvgpr read vgpr after write vgpr: 2 wait states
ds_bpermute_b32 v5, v0, v5, offset:64              // permute edge values
ds_bpermute_b32 v6, v0, v6, offset:64              // permute edge values
	;; [unrolled: 1-line block ×3, first 2 shown]
ds_bpermute_b32 v8, v0, v8, offset:128             // permute edge values
s_waitcnt 0                                        // wait for swizzle operation
v_accvgpr_write_b32 acc0, v5                       // 
v_accvgpr_write_b32 acc1, v6                       // 
v_accvgpr_write_b32 acc2, v7                       // 
v_accvgpr_write_b32 acc3, v8                       // 
v_accvgpr_read_b32 v5, acc13                       // glvw 11 mb 0 tt1 1 r 0
v_accvgpr_read_b32 v6, acc14                       // glvw 11 mb 0 tt1 1 r 0
v_accvgpr_read_b32 v7, acc15                       // glvw 11 mb 0 tt1 1 r 0
v_accvgpr_read_b32 v8, acc12                       // glvw 11 mb 0 tt1 1 r 0
s_nop 1                                            // v_accvgpr read vgpr after write vgpr: 2 wait states
ds_bpermute_b32 v5, v0, v5, offset:64              // permute edge values
ds_bpermute_b32 v6, v0, v6, offset:64              // permute edge values
	;; [unrolled: 1-line block ×3, first 2 shown]
ds_bpermute_b32 v8, v0, v8, offset:128             // permute edge values
s_waitcnt 0                                        // wait for swizzle operation
v_accvgpr_write_b32 acc12, v5                      // 
v_accvgpr_write_b32 acc13, v6                      // 
v_accvgpr_write_b32 acc14, v7                      // 
v_accvgpr_write_b32 acc15, v8                      // 
v_accvgpr_read_b32 v5, acc25                       // glvw 11 mb 0 tt1 2 r 0
v_accvgpr_read_b32 v6, acc26                       // glvw 11 mb 0 tt1 2 r 0
v_accvgpr_read_b32 v7, acc27                       // glvw 11 mb 0 tt1 2 r 0
v_accvgpr_read_b32 v8, acc24                       // glvw 11 mb 0 tt1 2 r 0
s_nop 1                                            // v_accvgpr read vgpr after write vgpr: 2 wait states
ds_bpermute_b32 v5, v0, v5, offset:64              // permute edge values
ds_bpermute_b32 v6, v0, v6, offset:64              // permute edge values
	;; [unrolled: 1-line block ×3, first 2 shown]
ds_bpermute_b32 v8, v0, v8, offset:128             // permute edge values
s_waitcnt 0                                        // wait for swizzle operation
v_accvgpr_write_b32 acc24, v5                      // 
v_accvgpr_write_b32 acc25, v6                      // 
v_accvgpr_write_b32 acc26, v7                      // 
v_accvgpr_write_b32 acc27, v8                      // 
s_mov_b64 s[32:33], 0xFFFFFFFFFFFFFFFF             // to restore all threads active
s_or_saveexec_b64 vcc, s[32:33]                    // all threads active
s_branch label_0134                                // done shifting


/******************************************/
/* shift d0 r=11 mb=1 vw0                 */
/******************************************/
label_0103: // r11 mb1 vw0 
s_mov_b32 s32, 2                                   // 
_v_cmpx_eq_u32 s[32:33], v4, s32                   // is thread in edge glvw region
v_and_b32 v0, 63, v[vgprSerial]                    // permute register between threads
v_lshlrev_b32 v0, 2, v0                            // permute register between threads
v_accvgpr_read_b32 v5, acc5                        // glvw 11 mb 1 tt1 0 r 0
v_accvgpr_read_b32 v6, acc6                        // glvw 11 mb 1 tt1 0 r 0
v_accvgpr_read_b32 v7, acc7                        // glvw 11 mb 1 tt1 0 r 0
v_accvgpr_read_b32 v8, acc4                        // glvw 11 mb 1 tt1 0 r 0
s_nop 1                                            // v_accvgpr read vgpr after write vgpr: 2 wait states
ds_bpermute_b32 v5, v0, v5, offset:64              // permute edge values
ds_bpermute_b32 v6, v0, v6, offset:64              // permute edge values
ds_bpermute_b32 v7, v0, v7, offset:64              // permute edge values
ds_bpermute_b32 v8, v0, v8, offset:128             // permute edge values
s_waitcnt 0                                        // wait for swizzle operation
v_accvgpr_write_b32 acc4, v5                       // 
v_accvgpr_write_b32 acc5, v6                       // 
v_accvgpr_write_b32 acc6, v7                       // 
v_accvgpr_write_b32 acc7, v8                       // 
v_accvgpr_read_b32 v5, acc17                       // glvw 11 mb 1 tt1 1 r 0
v_accvgpr_read_b32 v6, acc18                       // glvw 11 mb 1 tt1 1 r 0
v_accvgpr_read_b32 v7, acc19                       // glvw 11 mb 1 tt1 1 r 0
v_accvgpr_read_b32 v8, acc16                       // glvw 11 mb 1 tt1 1 r 0
s_nop 1                                            // v_accvgpr read vgpr after write vgpr: 2 wait states
ds_bpermute_b32 v5, v0, v5, offset:64              // permute edge values
ds_bpermute_b32 v6, v0, v6, offset:64              // permute edge values
	;; [unrolled: 1-line block ×3, first 2 shown]
ds_bpermute_b32 v8, v0, v8, offset:128             // permute edge values
s_waitcnt 0                                        // wait for swizzle operation
v_accvgpr_write_b32 acc16, v5                      // 
v_accvgpr_write_b32 acc17, v6                      // 
v_accvgpr_write_b32 acc18, v7                      // 
v_accvgpr_write_b32 acc19, v8                      // 
v_accvgpr_read_b32 v5, acc29                       // glvw 11 mb 1 tt1 2 r 0
v_accvgpr_read_b32 v6, acc30                       // glvw 11 mb 1 tt1 2 r 0
v_accvgpr_read_b32 v7, acc31                       // glvw 11 mb 1 tt1 2 r 0
v_accvgpr_read_b32 v8, acc28                       // glvw 11 mb 1 tt1 2 r 0
s_nop 1                                            // v_accvgpr read vgpr after write vgpr: 2 wait states
ds_bpermute_b32 v5, v0, v5, offset:64              // permute edge values
ds_bpermute_b32 v6, v0, v6, offset:64              // permute edge values
	;; [unrolled: 1-line block ×3, first 2 shown]
ds_bpermute_b32 v8, v0, v8, offset:128             // permute edge values
s_waitcnt 0                                        // wait for swizzle operation
v_accvgpr_write_b32 acc28, v5                      // 
v_accvgpr_write_b32 acc29, v6                      // 
v_accvgpr_write_b32 acc30, v7                      // 
v_accvgpr_write_b32 acc31, v8                      // 
s_mov_b64 s[32:33], 0xFFFFFFFFFFFFFFFF             // to restore all threads active
s_or_saveexec_b64 vcc, s[32:33]                    // all threads active
s_branch label_0134                                // done shifting


/******************************************/
/* shift d0 r=11 mb=2 vw0                 */
/******************************************/
label_0105: // r11 mb2 vw0 
s_mov_b32 s32, 4                                   // 
_v_cmpx_eq_u32 s[32:33], v4, s32                   // is thread in edge glvw region
v_and_b32 v0, 63, v[vgprSerial]                    // permute register between threads
v_lshlrev_b32 v0, 2, v0                            // permute register between threads
v_accvgpr_read_b32 v5, acc9                        // glvw 11 mb 2 tt1 0 r 0
v_accvgpr_read_b32 v6, acc10                       // glvw 11 mb 2 tt1 0 r 0
v_accvgpr_read_b32 v7, acc11                       // glvw 11 mb 2 tt1 0 r 0
v_accvgpr_read_b32 v8, acc8                        // glvw 11 mb 2 tt1 0 r 0
s_nop 1                                            // v_accvgpr read vgpr after write vgpr: 2 wait states
ds_bpermute_b32 v5, v0, v5, offset:64              // permute edge values
ds_bpermute_b32 v6, v0, v6, offset:64              // permute edge values
	;; [unrolled: 1-line block ×3, first 2 shown]
ds_bpermute_b32 v8, v0, v8, offset:128             // permute edge values
s_waitcnt 0                                        // wait for swizzle operation
v_accvgpr_write_b32 acc8, v5                       // 
v_accvgpr_write_b32 acc9, v6                       // 
v_accvgpr_write_b32 acc10, v7                      // 
v_accvgpr_write_b32 acc11, v8                      // 
v_accvgpr_read_b32 v5, acc21                       // glvw 11 mb 2 tt1 1 r 0
v_accvgpr_read_b32 v6, acc22                       // glvw 11 mb 2 tt1 1 r 0
v_accvgpr_read_b32 v7, acc23                       // glvw 11 mb 2 tt1 1 r 0
v_accvgpr_read_b32 v8, acc20                       // glvw 11 mb 2 tt1 1 r 0
s_nop 1                                            // v_accvgpr read vgpr after write vgpr: 2 wait states
ds_bpermute_b32 v5, v0, v5, offset:64              // permute edge values
ds_bpermute_b32 v6, v0, v6, offset:64              // permute edge values
	;; [unrolled: 1-line block ×3, first 2 shown]
ds_bpermute_b32 v8, v0, v8, offset:128             // permute edge values
s_waitcnt 0                                        // wait for swizzle operation
v_accvgpr_write_b32 acc20, v5                      // 
v_accvgpr_write_b32 acc21, v6                      // 
v_accvgpr_write_b32 acc22, v7                      // 
v_accvgpr_write_b32 acc23, v8                      // 
v_accvgpr_read_b32 v5, acc33                       // glvw 11 mb 2 tt1 2 r 0
v_accvgpr_read_b32 v6, acc34                       // glvw 11 mb 2 tt1 2 r 0
v_accvgpr_read_b32 v7, acc35                       // glvw 11 mb 2 tt1 2 r 0
v_accvgpr_read_b32 v8, acc32                       // glvw 11 mb 2 tt1 2 r 0
s_nop 1                                            // v_accvgpr read vgpr after write vgpr: 2 wait states
ds_bpermute_b32 v5, v0, v5, offset:64              // permute edge values
ds_bpermute_b32 v6, v0, v6, offset:64              // permute edge values
	;; [unrolled: 1-line block ×3, first 2 shown]
ds_bpermute_b32 v8, v0, v8, offset:128             // permute edge values
s_waitcnt 0                                        // wait for swizzle operation
v_accvgpr_write_b32 acc32, v5                      // 
v_accvgpr_write_b32 acc33, v6                      // 
v_accvgpr_write_b32 acc34, v7                      // 
v_accvgpr_write_b32 acc35, v8                      // 
s_mov_b64 s[32:33], 0xFFFFFFFFFFFFFFFF             // to restore all threads active
s_or_saveexec_b64 vcc, s[32:33]                    // all threads active
s_branch label_0134                                // done shifting


/******************************************/
/* shift d0 r=12 mb=0 vw0                 */
/******************************************/
label_0108: // r12 mb0 vw0 
s_mov_b32 s32, 0                                   // 
_v_cmpx_eq_u32 s[32:33], v4, s32                   // is thread in edge glvw region
v_and_b32 v0, 63, v[vgprSerial]                    // permute register between threads
v_lshlrev_b32 v0, 2, v0                            // permute register between threads
v_accvgpr_read_b32 v5, acc0                        // glvw 12 mb 0 tt1 0 r 0
v_accvgpr_read_b32 v6, acc1                        // glvw 12 mb 0 tt1 0 r 0
v_accvgpr_read_b32 v7, acc2                        // glvw 12 mb 0 tt1 0 r 0
v_accvgpr_read_b32 v8, acc3                        // glvw 12 mb 0 tt1 0 r 0
s_nop 1                                            // v_accvgpr read vgpr after write vgpr: 2 wait states
ds_bpermute_b32 v5, v0, v5, offset:64              // permute edge values
ds_bpermute_b32 v6, v0, v6, offset:64              // permute edge values
	;; [unrolled: 1-line block ×4, first 2 shown]
s_waitcnt 0                                        // wait for swizzle operation
v_accvgpr_write_b32 acc0, v5                       // 
v_accvgpr_write_b32 acc1, v6                       // 
v_accvgpr_write_b32 acc2, v7                       // 
v_accvgpr_write_b32 acc3, v8                       // 
v_accvgpr_read_b32 v5, acc12                       // glvw 12 mb 0 tt1 1 r 0
v_accvgpr_read_b32 v6, acc13                       // glvw 12 mb 0 tt1 1 r 0
v_accvgpr_read_b32 v7, acc14                       // glvw 12 mb 0 tt1 1 r 0
v_accvgpr_read_b32 v8, acc15                       // glvw 12 mb 0 tt1 1 r 0
s_nop 1                                            // v_accvgpr read vgpr after write vgpr: 2 wait states
ds_bpermute_b32 v5, v0, v5, offset:64              // permute edge values
ds_bpermute_b32 v6, v0, v6, offset:64              // permute edge values
	;; [unrolled: 1-line block ×4, first 2 shown]
s_waitcnt 0                                        // wait for swizzle operation
v_accvgpr_write_b32 acc12, v5                      // 
v_accvgpr_write_b32 acc13, v6                      // 
v_accvgpr_write_b32 acc14, v7                      // 
v_accvgpr_write_b32 acc15, v8                      // 
v_accvgpr_read_b32 v5, acc24                       // glvw 12 mb 0 tt1 2 r 0
v_accvgpr_read_b32 v6, acc25                       // glvw 12 mb 0 tt1 2 r 0
v_accvgpr_read_b32 v7, acc26                       // glvw 12 mb 0 tt1 2 r 0
v_accvgpr_read_b32 v8, acc27                       // glvw 12 mb 0 tt1 2 r 0
s_nop 1                                            // v_accvgpr read vgpr after write vgpr: 2 wait states
ds_bpermute_b32 v5, v0, v5, offset:64              // permute edge values
ds_bpermute_b32 v6, v0, v6, offset:64              // permute edge values
	;; [unrolled: 1-line block ×4, first 2 shown]
s_waitcnt 0                                        // wait for swizzle operation
v_accvgpr_write_b32 acc24, v5                      // 
v_accvgpr_write_b32 acc25, v6                      // 
v_accvgpr_write_b32 acc26, v7                      // 
v_accvgpr_write_b32 acc27, v8                      // 
s_mov_b64 s[32:33], 0xFFFFFFFFFFFFFFFF             // to restore all threads active
s_or_saveexec_b64 vcc, s[32:33]                    // all threads active
s_branch label_0134                                // done shifting


/******************************************/
/* shift d0 r=12 mb=1 vw0                 */
/******************************************/
label_0110: // r12 mb1 vw0 
s_mov_b32 s32, 2                                   // 
_v_cmpx_eq_u32 s[32:33], v4, s32                   // is thread in edge glvw region
v_and_b32 v0, 63, v[vgprSerial]                    // permute register between threads
v_lshlrev_b32 v0, 2, v0                            // permute register between threads
v_accvgpr_read_b32 v5, acc4                        // glvw 12 mb 1 tt1 0 r 0
v_accvgpr_read_b32 v6, acc5                        // glvw 12 mb 1 tt1 0 r 0
v_accvgpr_read_b32 v7, acc6                        // glvw 12 mb 1 tt1 0 r 0
v_accvgpr_read_b32 v8, acc7                        // glvw 12 mb 1 tt1 0 r 0
s_nop 1                                            // v_accvgpr read vgpr after write vgpr: 2 wait states
ds_bpermute_b32 v5, v0, v5, offset:64              // permute edge values
ds_bpermute_b32 v6, v0, v6, offset:64              // permute edge values
	;; [unrolled: 1-line block ×4, first 2 shown]
s_waitcnt 0                                        // wait for swizzle operation
v_accvgpr_write_b32 acc4, v5                       // 
v_accvgpr_write_b32 acc5, v6                       // 
v_accvgpr_write_b32 acc6, v7                       // 
v_accvgpr_write_b32 acc7, v8                       // 
v_accvgpr_read_b32 v5, acc16                       // glvw 12 mb 1 tt1 1 r 0
v_accvgpr_read_b32 v6, acc17                       // glvw 12 mb 1 tt1 1 r 0
v_accvgpr_read_b32 v7, acc18                       // glvw 12 mb 1 tt1 1 r 0
v_accvgpr_read_b32 v8, acc19                       // glvw 12 mb 1 tt1 1 r 0
s_nop 1                                            // v_accvgpr read vgpr after write vgpr: 2 wait states
ds_bpermute_b32 v5, v0, v5, offset:64              // permute edge values
ds_bpermute_b32 v6, v0, v6, offset:64              // permute edge values
	;; [unrolled: 1-line block ×4, first 2 shown]
s_waitcnt 0                                        // wait for swizzle operation
v_accvgpr_write_b32 acc16, v5                      // 
v_accvgpr_write_b32 acc17, v6                      // 
v_accvgpr_write_b32 acc18, v7                      // 
v_accvgpr_write_b32 acc19, v8                      // 
v_accvgpr_read_b32 v5, acc28                       // glvw 12 mb 1 tt1 2 r 0
v_accvgpr_read_b32 v6, acc29                       // glvw 12 mb 1 tt1 2 r 0
v_accvgpr_read_b32 v7, acc30                       // glvw 12 mb 1 tt1 2 r 0
v_accvgpr_read_b32 v8, acc31                       // glvw 12 mb 1 tt1 2 r 0
s_nop 1                                            // v_accvgpr read vgpr after write vgpr: 2 wait states
ds_bpermute_b32 v5, v0, v5, offset:64              // permute edge values
ds_bpermute_b32 v6, v0, v6, offset:64              // permute edge values
	;; [unrolled: 1-line block ×4, first 2 shown]
s_waitcnt 0                                        // wait for swizzle operation
v_accvgpr_write_b32 acc28, v5                      // 
v_accvgpr_write_b32 acc29, v6                      // 
v_accvgpr_write_b32 acc30, v7                      // 
v_accvgpr_write_b32 acc31, v8                      // 
s_mov_b64 s[32:33], 0xFFFFFFFFFFFFFFFF             // to restore all threads active
s_or_saveexec_b64 vcc, s[32:33]                    // all threads active
s_branch label_0134                                // done shifting


/******************************************/
/* shift d0 r=12 mb=2 vw0                 */
/******************************************/
label_0112: // r12 mb2 vw0 
s_mov_b32 s32, 4                                   // 
_v_cmpx_eq_u32 s[32:33], v4, s32                   // is thread in edge glvw region
v_and_b32 v0, 63, v[vgprSerial]                    // permute register between threads
v_lshlrev_b32 v0, 2, v0                            // permute register between threads
v_accvgpr_read_b32 v5, acc8                        // glvw 12 mb 2 tt1 0 r 0
v_accvgpr_read_b32 v6, acc9                        // glvw 12 mb 2 tt1 0 r 0
v_accvgpr_read_b32 v7, acc10                       // glvw 12 mb 2 tt1 0 r 0
v_accvgpr_read_b32 v8, acc11                       // glvw 12 mb 2 tt1 0 r 0
s_nop 1                                            // v_accvgpr read vgpr after write vgpr: 2 wait states
ds_bpermute_b32 v5, v0, v5, offset:64              // permute edge values
ds_bpermute_b32 v6, v0, v6, offset:64              // permute edge values
	;; [unrolled: 1-line block ×4, first 2 shown]
s_waitcnt 0                                        // wait for swizzle operation
v_accvgpr_write_b32 acc8, v5                       // 
v_accvgpr_write_b32 acc9, v6                       // 
v_accvgpr_write_b32 acc10, v7                      // 
v_accvgpr_write_b32 acc11, v8                      // 
v_accvgpr_read_b32 v5, acc20                       // glvw 12 mb 2 tt1 1 r 0
v_accvgpr_read_b32 v6, acc21                       // glvw 12 mb 2 tt1 1 r 0
v_accvgpr_read_b32 v7, acc22                       // glvw 12 mb 2 tt1 1 r 0
v_accvgpr_read_b32 v8, acc23                       // glvw 12 mb 2 tt1 1 r 0
s_nop 1                                            // v_accvgpr read vgpr after write vgpr: 2 wait states
ds_bpermute_b32 v5, v0, v5, offset:64              // permute edge values
ds_bpermute_b32 v6, v0, v6, offset:64              // permute edge values
	;; [unrolled: 1-line block ×4, first 2 shown]
s_waitcnt 0                                        // wait for swizzle operation
v_accvgpr_write_b32 acc20, v5                      // 
v_accvgpr_write_b32 acc21, v6                      // 
v_accvgpr_write_b32 acc22, v7                      // 
v_accvgpr_write_b32 acc23, v8                      // 
v_accvgpr_read_b32 v5, acc32                       // glvw 12 mb 2 tt1 2 r 0
v_accvgpr_read_b32 v6, acc33                       // glvw 12 mb 2 tt1 2 r 0
v_accvgpr_read_b32 v7, acc34                       // glvw 12 mb 2 tt1 2 r 0
v_accvgpr_read_b32 v8, acc35                       // glvw 12 mb 2 tt1 2 r 0
s_nop 1                                            // v_accvgpr read vgpr after write vgpr: 2 wait states
ds_bpermute_b32 v5, v0, v5, offset:64              // permute edge values
ds_bpermute_b32 v6, v0, v6, offset:64              // permute edge values
	;; [unrolled: 1-line block ×4, first 2 shown]
s_waitcnt 0                                        // wait for swizzle operation
v_accvgpr_write_b32 acc32, v5                      // 
v_accvgpr_write_b32 acc33, v6                      // 
v_accvgpr_write_b32 acc34, v7                      // 
v_accvgpr_write_b32 acc35, v8                      // 
s_mov_b64 s[32:33], 0xFFFFFFFFFFFFFFFF             // to restore all threads active
s_or_saveexec_b64 vcc, s[32:33]                    // all threads active
s_branch label_0134                                // done shifting


/******************************************/
/* shift d0 r=13 mb=0 vw0                 */
/******************************************/
label_0115: // r13 mb0 vw0 
s_mov_b32 s32, 0                                   // 
_v_cmpx_eq_u32 s[32:33], v4, s32                   // is thread in edge glvw region
v_and_b32 v0, 63, v[vgprSerial]                    // permute register between threads
v_lshlrev_b32 v0, 2, v0                            // permute register between threads
v_accvgpr_read_b32 v5, acc3                        // glvw 13 mb 0 tt1 0 r 0
v_accvgpr_read_b32 v6, acc0                        // glvw 13 mb 0 tt1 0 r 0
v_accvgpr_read_b32 v7, acc1                        // glvw 13 mb 0 tt1 0 r 0
v_accvgpr_read_b32 v8, acc2                        // glvw 13 mb 0 tt1 0 r 0
s_nop 1                                            // v_accvgpr read vgpr after write vgpr: 2 wait states
ds_bpermute_b32 v6, v0, v6, offset:64              // permute edge values
ds_bpermute_b32 v7, v0, v7, offset:64              // permute edge values
	;; [unrolled: 1-line block ×3, first 2 shown]
s_waitcnt 0                                        // wait for swizzle operation
v_accvgpr_write_b32 acc0, v5                       // 
v_accvgpr_write_b32 acc1, v6                       // 
v_accvgpr_write_b32 acc2, v7                       // 
v_accvgpr_write_b32 acc3, v8                       // 
v_accvgpr_read_b32 v5, acc15                       // glvw 13 mb 0 tt1 1 r 0
v_accvgpr_read_b32 v6, acc12                       // glvw 13 mb 0 tt1 1 r 0
v_accvgpr_read_b32 v7, acc13                       // glvw 13 mb 0 tt1 1 r 0
v_accvgpr_read_b32 v8, acc14                       // glvw 13 mb 0 tt1 1 r 0
s_nop 1                                            // v_accvgpr read vgpr after write vgpr: 2 wait states
ds_bpermute_b32 v6, v0, v6, offset:64              // permute edge values
ds_bpermute_b32 v7, v0, v7, offset:64              // permute edge values
	;; [unrolled: 1-line block ×3, first 2 shown]
s_waitcnt 0                                        // wait for swizzle operation
v_accvgpr_write_b32 acc12, v5                      // 
v_accvgpr_write_b32 acc13, v6                      // 
v_accvgpr_write_b32 acc14, v7                      // 
v_accvgpr_write_b32 acc15, v8                      // 
v_accvgpr_read_b32 v5, acc27                       // glvw 13 mb 0 tt1 2 r 0
v_accvgpr_read_b32 v6, acc24                       // glvw 13 mb 0 tt1 2 r 0
v_accvgpr_read_b32 v7, acc25                       // glvw 13 mb 0 tt1 2 r 0
v_accvgpr_read_b32 v8, acc26                       // glvw 13 mb 0 tt1 2 r 0
s_nop 1                                            // v_accvgpr read vgpr after write vgpr: 2 wait states
ds_bpermute_b32 v6, v0, v6, offset:64              // permute edge values
ds_bpermute_b32 v7, v0, v7, offset:64              // permute edge values
ds_bpermute_b32 v8, v0, v8, offset:64              // permute edge values
s_waitcnt 0                                        // wait for swizzle operation
v_accvgpr_write_b32 acc24, v5                      // 
v_accvgpr_write_b32 acc25, v6                      // 
v_accvgpr_write_b32 acc26, v7                      // 
v_accvgpr_write_b32 acc27, v8                      // 
s_mov_b64 s[32:33], 0xFFFFFFFFFFFFFFFF             // to restore all threads active
s_or_saveexec_b64 vcc, s[32:33]                    // all threads active
s_branch label_0134                                // done shifting


/******************************************/
/* shift d0 r=13 mb=1 vw0                 */
/******************************************/
label_0117: // r13 mb1 vw0 
s_mov_b32 s32, 2                                   // 
_v_cmpx_eq_u32 s[32:33], v4, s32                   // is thread in edge glvw region
v_and_b32 v0, 63, v[vgprSerial]                    // permute register between threads
v_lshlrev_b32 v0, 2, v0                            // permute register between threads
v_accvgpr_read_b32 v5, acc7                        // glvw 13 mb 1 tt1 0 r 0
v_accvgpr_read_b32 v6, acc4                        // glvw 13 mb 1 tt1 0 r 0
v_accvgpr_read_b32 v7, acc5                        // glvw 13 mb 1 tt1 0 r 0
v_accvgpr_read_b32 v8, acc6                        // glvw 13 mb 1 tt1 0 r 0
s_nop 1                                            // v_accvgpr read vgpr after write vgpr: 2 wait states
ds_bpermute_b32 v6, v0, v6, offset:64              // permute edge values
ds_bpermute_b32 v7, v0, v7, offset:64              // permute edge values
	;; [unrolled: 1-line block ×3, first 2 shown]
s_waitcnt 0                                        // wait for swizzle operation
v_accvgpr_write_b32 acc4, v5                       // 
v_accvgpr_write_b32 acc5, v6                       // 
v_accvgpr_write_b32 acc6, v7                       // 
v_accvgpr_write_b32 acc7, v8                       // 
v_accvgpr_read_b32 v5, acc19                       // glvw 13 mb 1 tt1 1 r 0
v_accvgpr_read_b32 v6, acc16                       // glvw 13 mb 1 tt1 1 r 0
v_accvgpr_read_b32 v7, acc17                       // glvw 13 mb 1 tt1 1 r 0
v_accvgpr_read_b32 v8, acc18                       // glvw 13 mb 1 tt1 1 r 0
s_nop 1                                            // v_accvgpr read vgpr after write vgpr: 2 wait states
ds_bpermute_b32 v6, v0, v6, offset:64              // permute edge values
ds_bpermute_b32 v7, v0, v7, offset:64              // permute edge values
	;; [unrolled: 1-line block ×3, first 2 shown]
s_waitcnt 0                                        // wait for swizzle operation
v_accvgpr_write_b32 acc16, v5                      // 
v_accvgpr_write_b32 acc17, v6                      // 
v_accvgpr_write_b32 acc18, v7                      // 
v_accvgpr_write_b32 acc19, v8                      // 
v_accvgpr_read_b32 v5, acc31                       // glvw 13 mb 1 tt1 2 r 0
v_accvgpr_read_b32 v6, acc28                       // glvw 13 mb 1 tt1 2 r 0
v_accvgpr_read_b32 v7, acc29                       // glvw 13 mb 1 tt1 2 r 0
v_accvgpr_read_b32 v8, acc30                       // glvw 13 mb 1 tt1 2 r 0
s_nop 1                                            // v_accvgpr read vgpr after write vgpr: 2 wait states
ds_bpermute_b32 v6, v0, v6, offset:64              // permute edge values
ds_bpermute_b32 v7, v0, v7, offset:64              // permute edge values
	;; [unrolled: 1-line block ×3, first 2 shown]
s_waitcnt 0                                        // wait for swizzle operation
v_accvgpr_write_b32 acc28, v5                      // 
v_accvgpr_write_b32 acc29, v6                      // 
v_accvgpr_write_b32 acc30, v7                      // 
v_accvgpr_write_b32 acc31, v8                      // 
s_mov_b64 s[32:33], 0xFFFFFFFFFFFFFFFF             // to restore all threads active
s_or_saveexec_b64 vcc, s[32:33]                    // all threads active
s_branch label_0134                                // done shifting


/******************************************/
/* shift d0 r=13 mb=2 vw0                 */
/******************************************/
label_0119: // r13 mb2 vw0 
s_mov_b32 s32, 4                                   // 
_v_cmpx_eq_u32 s[32:33], v4, s32                   // is thread in edge glvw region
v_and_b32 v0, 63, v[vgprSerial]                    // permute register between threads
v_lshlrev_b32 v0, 2, v0                            // permute register between threads
v_accvgpr_read_b32 v5, acc11                       // glvw 13 mb 2 tt1 0 r 0
v_accvgpr_read_b32 v6, acc8                        // glvw 13 mb 2 tt1 0 r 0
v_accvgpr_read_b32 v7, acc9                        // glvw 13 mb 2 tt1 0 r 0
v_accvgpr_read_b32 v8, acc10                       // glvw 13 mb 2 tt1 0 r 0
s_nop 1                                            // v_accvgpr read vgpr after write vgpr: 2 wait states
ds_bpermute_b32 v6, v0, v6, offset:64              // permute edge values
ds_bpermute_b32 v7, v0, v7, offset:64              // permute edge values
	;; [unrolled: 1-line block ×3, first 2 shown]
s_waitcnt 0                                        // wait for swizzle operation
v_accvgpr_write_b32 acc8, v5                       // 
v_accvgpr_write_b32 acc9, v6                       // 
v_accvgpr_write_b32 acc10, v7                      // 
v_accvgpr_write_b32 acc11, v8                      // 
v_accvgpr_read_b32 v5, acc23                       // glvw 13 mb 2 tt1 1 r 0
v_accvgpr_read_b32 v6, acc20                       // glvw 13 mb 2 tt1 1 r 0
v_accvgpr_read_b32 v7, acc21                       // glvw 13 mb 2 tt1 1 r 0
v_accvgpr_read_b32 v8, acc22                       // glvw 13 mb 2 tt1 1 r 0
s_nop 1                                            // v_accvgpr read vgpr after write vgpr: 2 wait states
ds_bpermute_b32 v6, v0, v6, offset:64              // permute edge values
ds_bpermute_b32 v7, v0, v7, offset:64              // permute edge values
	;; [unrolled: 1-line block ×3, first 2 shown]
s_waitcnt 0                                        // wait for swizzle operation
v_accvgpr_write_b32 acc20, v5                      // 
v_accvgpr_write_b32 acc21, v6                      // 
v_accvgpr_write_b32 acc22, v7                      // 
v_accvgpr_write_b32 acc23, v8                      // 
v_accvgpr_read_b32 v5, acc35                       // glvw 13 mb 2 tt1 2 r 0
v_accvgpr_read_b32 v6, acc32                       // glvw 13 mb 2 tt1 2 r 0
v_accvgpr_read_b32 v7, acc33                       // glvw 13 mb 2 tt1 2 r 0
v_accvgpr_read_b32 v8, acc34                       // glvw 13 mb 2 tt1 2 r 0
s_nop 1                                            // v_accvgpr read vgpr after write vgpr: 2 wait states
ds_bpermute_b32 v6, v0, v6, offset:64              // permute edge values
ds_bpermute_b32 v7, v0, v7, offset:64              // permute edge values
	;; [unrolled: 1-line block ×3, first 2 shown]
s_waitcnt 0                                        // wait for swizzle operation
v_accvgpr_write_b32 acc32, v5                      // 
v_accvgpr_write_b32 acc33, v6                      // 
v_accvgpr_write_b32 acc34, v7                      // 
v_accvgpr_write_b32 acc35, v8                      // 
s_mov_b64 s[32:33], 0xFFFFFFFFFFFFFFFF             // to restore all threads active
s_or_saveexec_b64 vcc, s[32:33]                    // all threads active
s_branch label_0134                                // done shifting


/******************************************/
/* shift d0 r=14 mb=0 vw0                 */
/******************************************/
label_0122: // r14 mb0 vw0 
s_mov_b32 s32, 0                                   // 
_v_cmpx_eq_u32 s[32:33], v4, s32                   // is thread in edge glvw region
v_and_b32 v0, 63, v[vgprSerial]                    // permute register between threads
v_lshlrev_b32 v0, 2, v0                            // permute register between threads
v_accvgpr_read_b32 v5, acc2                        // glvw 14 mb 0 tt1 0 r 0
v_accvgpr_read_b32 v6, acc3                        // glvw 14 mb 0 tt1 0 r 0
v_accvgpr_read_b32 v7, acc0                        // glvw 14 mb 0 tt1 0 r 0
v_accvgpr_read_b32 v8, acc1                        // glvw 14 mb 0 tt1 0 r 0
s_nop 1                                            // v_accvgpr read vgpr after write vgpr: 2 wait states
ds_bpermute_b32 v7, v0, v7, offset:64              // permute edge values
ds_bpermute_b32 v8, v0, v8, offset:64              // permute edge values
s_waitcnt 0                                        // wait for swizzle operation
v_accvgpr_write_b32 acc0, v5                       // 
v_accvgpr_write_b32 acc1, v6                       // 
v_accvgpr_write_b32 acc2, v7                       // 
v_accvgpr_write_b32 acc3, v8                       // 
v_accvgpr_read_b32 v5, acc14                       // glvw 14 mb 0 tt1 1 r 0
v_accvgpr_read_b32 v6, acc15                       // glvw 14 mb 0 tt1 1 r 0
v_accvgpr_read_b32 v7, acc12                       // glvw 14 mb 0 tt1 1 r 0
v_accvgpr_read_b32 v8, acc13                       // glvw 14 mb 0 tt1 1 r 0
s_nop 1                                            // v_accvgpr read vgpr after write vgpr: 2 wait states
ds_bpermute_b32 v7, v0, v7, offset:64              // permute edge values
ds_bpermute_b32 v8, v0, v8, offset:64              // permute edge values
s_waitcnt 0                                        // wait for swizzle operation
v_accvgpr_write_b32 acc12, v5                      // 
v_accvgpr_write_b32 acc13, v6                      // 
v_accvgpr_write_b32 acc14, v7                      // 
v_accvgpr_write_b32 acc15, v8                      // 
v_accvgpr_read_b32 v5, acc26                       // glvw 14 mb 0 tt1 2 r 0
v_accvgpr_read_b32 v6, acc27                       // glvw 14 mb 0 tt1 2 r 0
v_accvgpr_read_b32 v7, acc24                       // glvw 14 mb 0 tt1 2 r 0
v_accvgpr_read_b32 v8, acc25                       // glvw 14 mb 0 tt1 2 r 0
s_nop 1                                            // v_accvgpr read vgpr after write vgpr: 2 wait states
ds_bpermute_b32 v7, v0, v7, offset:64              // permute edge values
ds_bpermute_b32 v8, v0, v8, offset:64              // permute edge values
s_waitcnt 0                                        // wait for swizzle operation
v_accvgpr_write_b32 acc24, v5                      // 
v_accvgpr_write_b32 acc25, v6                      // 
v_accvgpr_write_b32 acc26, v7                      // 
v_accvgpr_write_b32 acc27, v8                      // 
s_mov_b64 s[32:33], 0xFFFFFFFFFFFFFFFF             // to restore all threads active
s_or_saveexec_b64 vcc, s[32:33]                    // all threads active
s_branch label_0134                                // done shifting


/******************************************/
/* shift d0 r=14 mb=1 vw0                 */
/******************************************/
label_0124: // r14 mb1 vw0 
s_mov_b32 s32, 2                                   // 
_v_cmpx_eq_u32 s[32:33], v4, s32                   // is thread in edge glvw region
v_and_b32 v0, 63, v[vgprSerial]                    // permute register between threads
v_lshlrev_b32 v0, 2, v0                            // permute register between threads
v_accvgpr_read_b32 v5, acc6                        // glvw 14 mb 1 tt1 0 r 0
v_accvgpr_read_b32 v6, acc7                        // glvw 14 mb 1 tt1 0 r 0
v_accvgpr_read_b32 v7, acc4                        // glvw 14 mb 1 tt1 0 r 0
v_accvgpr_read_b32 v8, acc5                        // glvw 14 mb 1 tt1 0 r 0
s_nop 1                                            // v_accvgpr read vgpr after write vgpr: 2 wait states
ds_bpermute_b32 v7, v0, v7, offset:64              // permute edge values
ds_bpermute_b32 v8, v0, v8, offset:64              // permute edge values
s_waitcnt 0                                        // wait for swizzle operation
v_accvgpr_write_b32 acc4, v5                       // 
v_accvgpr_write_b32 acc5, v6                       // 
v_accvgpr_write_b32 acc6, v7                       // 
v_accvgpr_write_b32 acc7, v8                       // 
v_accvgpr_read_b32 v5, acc18                       // glvw 14 mb 1 tt1 1 r 0
v_accvgpr_read_b32 v6, acc19                       // glvw 14 mb 1 tt1 1 r 0
v_accvgpr_read_b32 v7, acc16                       // glvw 14 mb 1 tt1 1 r 0
v_accvgpr_read_b32 v8, acc17                       // glvw 14 mb 1 tt1 1 r 0
s_nop 1                                            // v_accvgpr read vgpr after write vgpr: 2 wait states
ds_bpermute_b32 v7, v0, v7, offset:64              // permute edge values
ds_bpermute_b32 v8, v0, v8, offset:64              // permute edge values
s_waitcnt 0                                        // wait for swizzle operation
v_accvgpr_write_b32 acc16, v5                      // 
v_accvgpr_write_b32 acc17, v6                      // 
v_accvgpr_write_b32 acc18, v7                      // 
v_accvgpr_write_b32 acc19, v8                      // 
v_accvgpr_read_b32 v5, acc30                       // glvw 14 mb 1 tt1 2 r 0
v_accvgpr_read_b32 v6, acc31                       // glvw 14 mb 1 tt1 2 r 0
v_accvgpr_read_b32 v7, acc28                       // glvw 14 mb 1 tt1 2 r 0
v_accvgpr_read_b32 v8, acc29                       // glvw 14 mb 1 tt1 2 r 0
s_nop 1                                            // v_accvgpr read vgpr after write vgpr: 2 wait states
ds_bpermute_b32 v7, v0, v7, offset:64              // permute edge values
ds_bpermute_b32 v8, v0, v8, offset:64              // permute edge values
s_waitcnt 0                                        // wait for swizzle operation
v_accvgpr_write_b32 acc28, v5                      // 
v_accvgpr_write_b32 acc29, v6                      // 
v_accvgpr_write_b32 acc30, v7                      // 
v_accvgpr_write_b32 acc31, v8                      // 
s_mov_b64 s[32:33], 0xFFFFFFFFFFFFFFFF             // to restore all threads active
s_or_saveexec_b64 vcc, s[32:33]                    // all threads active
s_branch label_0134                                // done shifting


/******************************************/
/* shift d0 r=14 mb=2 vw0                 */
/******************************************/
label_0126: // r14 mb2 vw0 
s_mov_b32 s32, 4                                   // 
_v_cmpx_eq_u32 s[32:33], v4, s32                   // is thread in edge glvw region
v_and_b32 v0, 63, v[vgprSerial]                    // permute register between threads
v_lshlrev_b32 v0, 2, v0                            // permute register between threads
v_accvgpr_read_b32 v5, acc10                       // glvw 14 mb 2 tt1 0 r 0
v_accvgpr_read_b32 v6, acc11                       // glvw 14 mb 2 tt1 0 r 0
v_accvgpr_read_b32 v7, acc8                        // glvw 14 mb 2 tt1 0 r 0
v_accvgpr_read_b32 v8, acc9                        // glvw 14 mb 2 tt1 0 r 0
s_nop 1                                            // v_accvgpr read vgpr after write vgpr: 2 wait states
ds_bpermute_b32 v7, v0, v7, offset:64              // permute edge values
ds_bpermute_b32 v8, v0, v8, offset:64              // permute edge values
s_waitcnt 0                                        // wait for swizzle operation
v_accvgpr_write_b32 acc8, v5                       // 
v_accvgpr_write_b32 acc9, v6                       // 
v_accvgpr_write_b32 acc10, v7                      // 
v_accvgpr_write_b32 acc11, v8                      // 
v_accvgpr_read_b32 v5, acc22                       // glvw 14 mb 2 tt1 1 r 0
v_accvgpr_read_b32 v6, acc23                       // glvw 14 mb 2 tt1 1 r 0
v_accvgpr_read_b32 v7, acc20                       // glvw 14 mb 2 tt1 1 r 0
v_accvgpr_read_b32 v8, acc21                       // glvw 14 mb 2 tt1 1 r 0
s_nop 1                                            // v_accvgpr read vgpr after write vgpr: 2 wait states
ds_bpermute_b32 v7, v0, v7, offset:64              // permute edge values
ds_bpermute_b32 v8, v0, v8, offset:64              // permute edge values
s_waitcnt 0                                        // wait for swizzle operation
v_accvgpr_write_b32 acc20, v5                      // 
v_accvgpr_write_b32 acc21, v6                      // 
v_accvgpr_write_b32 acc22, v7                      // 
v_accvgpr_write_b32 acc23, v8                      // 
v_accvgpr_read_b32 v5, acc34                       // glvw 14 mb 2 tt1 2 r 0
v_accvgpr_read_b32 v6, acc35                       // glvw 14 mb 2 tt1 2 r 0
v_accvgpr_read_b32 v7, acc32                       // glvw 14 mb 2 tt1 2 r 0
v_accvgpr_read_b32 v8, acc33                       // glvw 14 mb 2 tt1 2 r 0
s_nop 1                                            // v_accvgpr read vgpr after write vgpr: 2 wait states
ds_bpermute_b32 v7, v0, v7, offset:64              // permute edge values
ds_bpermute_b32 v8, v0, v8, offset:64              // permute edge values
s_waitcnt 0                                        // wait for swizzle operation
v_accvgpr_write_b32 acc32, v5                      // 
v_accvgpr_write_b32 acc33, v6                      // 
v_accvgpr_write_b32 acc34, v7                      // 
v_accvgpr_write_b32 acc35, v8                      // 
s_mov_b64 s[32:33], 0xFFFFFFFFFFFFFFFF             // to restore all threads active
s_or_saveexec_b64 vcc, s[32:33]                    // all threads active
s_branch label_0134                                // done shifting


/******************************************/
/* shift d0 r=15 mb=0 vw0                 */
/******************************************/
label_0129: // r15 mb0 vw0 
s_mov_b32 s32, 0                                   // 
_v_cmpx_eq_u32 s[32:33], v4, s32                   // is thread in edge glvw region
v_and_b32 v0, 63, v[vgprSerial]                    // permute register between threads
v_lshlrev_b32 v0, 2, v0                            // permute register between threads
v_accvgpr_read_b32 v5, acc1                        // glvw 15 mb 0 tt1 0 r 0
v_accvgpr_read_b32 v6, acc2                        // glvw 15 mb 0 tt1 0 r 0
v_accvgpr_read_b32 v7, acc3                        // glvw 15 mb 0 tt1 0 r 0
v_accvgpr_read_b32 v8, acc0                        // glvw 15 mb 0 tt1 0 r 0
s_nop 1                                            // v_accvgpr read vgpr after write vgpr: 2 wait states
ds_bpermute_b32 v8, v0, v8, offset:64              // permute edge values
s_waitcnt 0                                        // wait for swizzle operation
v_accvgpr_write_b32 acc0, v5                       // 
v_accvgpr_write_b32 acc1, v6                       // 
v_accvgpr_write_b32 acc2, v7                       // 
v_accvgpr_write_b32 acc3, v8                       // 
v_accvgpr_read_b32 v5, acc13                       // glvw 15 mb 0 tt1 1 r 0
v_accvgpr_read_b32 v6, acc14                       // glvw 15 mb 0 tt1 1 r 0
v_accvgpr_read_b32 v7, acc15                       // glvw 15 mb 0 tt1 1 r 0
v_accvgpr_read_b32 v8, acc12                       // glvw 15 mb 0 tt1 1 r 0
s_nop 1                                            // v_accvgpr read vgpr after write vgpr: 2 wait states
ds_bpermute_b32 v8, v0, v8, offset:64              // permute edge values
s_waitcnt 0                                        // wait for swizzle operation
v_accvgpr_write_b32 acc12, v5                      // 
v_accvgpr_write_b32 acc13, v6                      // 
v_accvgpr_write_b32 acc14, v7                      // 
v_accvgpr_write_b32 acc15, v8                      // 
v_accvgpr_read_b32 v5, acc25                       // glvw 15 mb 0 tt1 2 r 0
v_accvgpr_read_b32 v6, acc26                       // glvw 15 mb 0 tt1 2 r 0
v_accvgpr_read_b32 v7, acc27                       // glvw 15 mb 0 tt1 2 r 0
v_accvgpr_read_b32 v8, acc24                       // glvw 15 mb 0 tt1 2 r 0
s_nop 1                                            // v_accvgpr read vgpr after write vgpr: 2 wait states
ds_bpermute_b32 v8, v0, v8, offset:64              // permute edge values
s_waitcnt 0                                        // wait for swizzle operation
v_accvgpr_write_b32 acc24, v5                      // 
v_accvgpr_write_b32 acc25, v6                      // 
v_accvgpr_write_b32 acc26, v7                      // 
v_accvgpr_write_b32 acc27, v8                      // 
s_mov_b64 s[32:33], 0xFFFFFFFFFFFFFFFF             // to restore all threads active
s_or_saveexec_b64 vcc, s[32:33]                    // all threads active
s_branch label_0134                                // done shifting


/******************************************/
/* shift d0 r=15 mb=1 vw0                 */
/******************************************/
label_0131: // r15 mb1 vw0 
s_mov_b32 s32, 2                                   // 
_v_cmpx_eq_u32 s[32:33], v4, s32                   // is thread in edge glvw region
v_and_b32 v0, 63, v[vgprSerial]                    // permute register between threads
v_lshlrev_b32 v0, 2, v0                            // permute register between threads
v_accvgpr_read_b32 v5, acc5                        // glvw 15 mb 1 tt1 0 r 0
v_accvgpr_read_b32 v6, acc6                        // glvw 15 mb 1 tt1 0 r 0
v_accvgpr_read_b32 v7, acc7                        // glvw 15 mb 1 tt1 0 r 0
v_accvgpr_read_b32 v8, acc4                        // glvw 15 mb 1 tt1 0 r 0
s_nop 1                                            // v_accvgpr read vgpr after write vgpr: 2 wait states
ds_bpermute_b32 v8, v0, v8, offset:64              // permute edge values
s_waitcnt 0                                        // wait for swizzle operation
v_accvgpr_write_b32 acc4, v5                       // 
v_accvgpr_write_b32 acc5, v6                       // 
v_accvgpr_write_b32 acc6, v7                       // 
v_accvgpr_write_b32 acc7, v8                       // 
v_accvgpr_read_b32 v5, acc17                       // glvw 15 mb 1 tt1 1 r 0
v_accvgpr_read_b32 v6, acc18                       // glvw 15 mb 1 tt1 1 r 0
v_accvgpr_read_b32 v7, acc19                       // glvw 15 mb 1 tt1 1 r 0
v_accvgpr_read_b32 v8, acc16                       // glvw 15 mb 1 tt1 1 r 0
s_nop 1                                            // v_accvgpr read vgpr after write vgpr: 2 wait states
ds_bpermute_b32 v8, v0, v8, offset:64              // permute edge values
s_waitcnt 0                                        // wait for swizzle operation
v_accvgpr_write_b32 acc16, v5                      // 
v_accvgpr_write_b32 acc17, v6                      // 
v_accvgpr_write_b32 acc18, v7                      // 
v_accvgpr_write_b32 acc19, v8                      // 
v_accvgpr_read_b32 v5, acc29                       // glvw 15 mb 1 tt1 2 r 0
v_accvgpr_read_b32 v6, acc30                       // glvw 15 mb 1 tt1 2 r 0
v_accvgpr_read_b32 v7, acc31                       // glvw 15 mb 1 tt1 2 r 0
v_accvgpr_read_b32 v8, acc28                       // glvw 15 mb 1 tt1 2 r 0
s_nop 1                                            // v_accvgpr read vgpr after write vgpr: 2 wait states
ds_bpermute_b32 v8, v0, v8, offset:64              // permute edge values
s_waitcnt 0                                        // wait for swizzle operation
v_accvgpr_write_b32 acc28, v5                      // 
v_accvgpr_write_b32 acc29, v6                      // 
v_accvgpr_write_b32 acc30, v7                      // 
v_accvgpr_write_b32 acc31, v8                      // 
s_mov_b64 s[32:33], 0xFFFFFFFFFFFFFFFF             // to restore all threads active
s_or_saveexec_b64 vcc, s[32:33]                    // all threads active
s_branch label_0134                                // done shifting


/******************************************/
/* shift d0 r=15 mb=2 vw0                 */
/******************************************/
label_0133: // r15 mb2 vw0 
s_mov_b32 s32, 4                                   // 
_v_cmpx_eq_u32 s[32:33], v4, s32                   // is thread in edge glvw region
v_and_b32 v0, 63, v[vgprSerial]                    // permute register between threads
v_lshlrev_b32 v0, 2, v0                            // permute register between threads
v_accvgpr_read_b32 v5, acc9                        // glvw 15 mb 2 tt1 0 r 0
v_accvgpr_read_b32 v6, acc10                       // glvw 15 mb 2 tt1 0 r 0
v_accvgpr_read_b32 v7, acc11                       // glvw 15 mb 2 tt1 0 r 0
v_accvgpr_read_b32 v8, acc8                        // glvw 15 mb 2 tt1 0 r 0
s_nop 1                                            // v_accvgpr read vgpr after write vgpr: 2 wait states
ds_bpermute_b32 v8, v0, v8, offset:64              // permute edge values
s_waitcnt 0                                        // wait for swizzle operation
v_accvgpr_write_b32 acc8, v5                       // 
v_accvgpr_write_b32 acc9, v6                       // 
v_accvgpr_write_b32 acc10, v7                      // 
v_accvgpr_write_b32 acc11, v8                      // 
v_accvgpr_read_b32 v5, acc21                       // glvw 15 mb 2 tt1 1 r 0
v_accvgpr_read_b32 v6, acc22                       // glvw 15 mb 2 tt1 1 r 0
v_accvgpr_read_b32 v7, acc23                       // glvw 15 mb 2 tt1 1 r 0
v_accvgpr_read_b32 v8, acc20                       // glvw 15 mb 2 tt1 1 r 0
s_nop 1                                            // v_accvgpr read vgpr after write vgpr: 2 wait states
ds_bpermute_b32 v8, v0, v8, offset:64              // permute edge values
s_waitcnt 0                                        // wait for swizzle operation
v_accvgpr_write_b32 acc20, v5                      // 
v_accvgpr_write_b32 acc21, v6                      // 
v_accvgpr_write_b32 acc22, v7                      // 
v_accvgpr_write_b32 acc23, v8                      // 
v_accvgpr_read_b32 v5, acc33                       // glvw 15 mb 2 tt1 2 r 0
v_accvgpr_read_b32 v6, acc34                       // glvw 15 mb 2 tt1 2 r 0
v_accvgpr_read_b32 v7, acc35                       // glvw 15 mb 2 tt1 2 r 0
v_accvgpr_read_b32 v8, acc32                       // glvw 15 mb 2 tt1 2 r 0
s_nop 1                                            // v_accvgpr read vgpr after write vgpr: 2 wait states
ds_bpermute_b32 v8, v0, v8, offset:64              // permute edge values
s_waitcnt 0                                        // wait for swizzle operation
v_accvgpr_write_b32 acc32, v5                      // 
v_accvgpr_write_b32 acc33, v6                      // 
v_accvgpr_write_b32 acc34, v7                      // 
v_accvgpr_write_b32 acc35, v8                      // 
s_mov_b64 s[32:33], 0xFFFFFFFFFFFFFFFF             // to restore all threads active
s_or_saveexec_b64 vcc, s[32:33]                    // all threads active
s_branch label_0134                                // done shifting

label_0134: // end shift0


/* shift vector components d1 */

v_mov_b32 v1, s[sgprWorkGroup1]                    // 
v_mul_i32_i24 v1, -0x60, v1                        // wg*MT
_v_add_co_u32 v1, vcc, s[sgprSizesFree+1], v1      // wgMT = Size - wg*MT
v_mov_b32 v2, 0x60                                 // MT
v_min_u32 v1, v2, v1                               // wgMT = (wgMT < MT) ? wgMT : MT
v_lshrrev_b32 v0, 7, v[vgprSerial]                 // v0 = v[vgprSerial] / 128
v_and_b32 v3, 1, v0                                // v3 = v0 % 2
v_lshrrev_b32 v0, 4, v1                            // v0 = v1 / 16
v_and_b32 v4, 1, v0                                // v4 = v0 % 2
v_cmp_eq_u32 s[32:33], v4, v3                      // wave_id == block_belong_to_wave?
v_cndmask_b32 v1, v2, v1, s[32:33]                 // wgMT = (wgMT < MT) ? wgMT : MT

/* mbReg: which mb block need to shift, mb(matrixInstCoal(16) * VectorWidth(1)) */
v_lshrrev_b32 v2, 4, v1                            // v2 = v1 / 16
v_lshlrev_b32 v4, 0x0, v3                          // v4 = v3 * 1
_v_sub_u32 v2, v2, v4                              // 

/* gbReg: glvw block id */
v_lshrrev_b32 v4, 4, v1                            // v4 = v1 / 16

/* tgbReg: glvw block id */
v_lshrrev_b32 v0, 0, v[vgprSerial]                 // v0 = v[vgprSerial] / 1
v_and_b32 v5, 15, v0                               // v5 = v0 % 16
                                                   // v5 = v5 * 1 (multiplier is 1, do nothing)
v_lshrrev_b32 v5, 4, v5                            // v5 = v5 / 16
                                                   // v3 = v3 * 1 (multiplier is 1, do nothing)
_v_add_co_u32 v5, vcc, v3, v5                      // tgbReg = (tid_coal * continOut) / GLVW
_v_sub_u32 v4, v4, v5                              // 

/* vwReg: glvw in which vw block? */
v_and_b32 v3, 0, v1                                // permute register between threads
v_lshrrev_b32 v3, 4, v3                            // permute register between threads

/* rReg : reminder of M_size % GlobalLoadVectorWidth */
v_and_b32 v5, 15, v1                               // v5 = v1 % 16
v_cmp_eq_u32 vcc, v5, 0x1                          // wgMT%VW == 1
s_cbranch_vccnz label_0141                         // branch to shift d1 r=1
v_cmp_eq_u32 vcc, v5, 0x2                          // wgMT%VW == 2
s_cbranch_vccnz label_0148                         // branch to shift d1 r=2
v_cmp_eq_u32 vcc, v5, 0x3                          // wgMT%VW == 3
s_cbranch_vccnz label_0155                         // branch to shift d1 r=3
v_cmp_eq_u32 vcc, v5, 0x4                          // wgMT%VW == 4
s_cbranch_vccnz label_0162                         // branch to shift d1 r=4
v_cmp_eq_u32 vcc, v5, 0x5                          // wgMT%VW == 5
s_cbranch_vccnz label_0169                         // branch to shift d1 r=5
v_cmp_eq_u32 vcc, v5, 0x6                          // wgMT%VW == 6
s_cbranch_vccnz label_0176                         // branch to shift d1 r=6
v_cmp_eq_u32 vcc, v5, 0x7                          // wgMT%VW == 7
s_cbranch_vccnz label_0183                         // branch to shift d1 r=7
v_cmp_eq_u32 vcc, v5, 0x8                          // wgMT%VW == 8
s_cbranch_vccnz label_0190                         // branch to shift d1 r=8
v_cmp_eq_u32 vcc, v5, 0x9                          // wgMT%VW == 9
s_cbranch_vccnz label_0197                         // branch to shift d1 r=9
v_cmp_eq_u32 vcc, v5, 0xa                          // wgMT%VW == 10
s_cbranch_vccnz label_0204                         // branch to shift d1 r=10
v_cmp_eq_u32 vcc, v5, 0xb                          // wgMT%VW == 11
s_cbranch_vccnz label_0211                         // branch to shift d1 r=11
v_cmp_eq_u32 vcc, v5, 0xc                          // wgMT%VW == 12
s_cbranch_vccnz label_0218                         // branch to shift d1 r=12
v_cmp_eq_u32 vcc, v5, 0xd                          // wgMT%VW == 13
s_cbranch_vccnz label_0225                         // branch to shift d1 r=13
v_cmp_eq_u32 vcc, v5, 0xe                          // wgMT%VW == 14
s_cbranch_vccnz label_0232                         // branch to shift d1 r=14
v_cmp_eq_u32 vcc, v5, 0xf                          // wgMT%VW == 15
s_cbranch_vccnz label_0239                         // branch to shift d1 r=15
s_branch label_0246                                // no shifting

/******************************************/
/* shift d1 r=1                           */
/******************************************/
label_0141:
v_cmp_eq_u32 vcc, v2, 0x0                          // 
s_cbranch_vccnz label_0142                         // branch to shift d1 r1 mb0
v_cmp_eq_u32 vcc, v2, 0x2                          // 
s_cbranch_vccnz label_0144                         // branch to shift d1 r1 mb1
v_cmp_eq_u32 vcc, v2, 0x4                          // 
s_cbranch_vccnz label_0146                         // branch to shift d1 r1 mb2

/******************************************/
/* shift d1 r=2                           */
/******************************************/
label_0148:
v_cmp_eq_u32 vcc, v2, 0x0                          // 
s_cbranch_vccnz label_0149                         // branch to shift d1 r2 mb0
v_cmp_eq_u32 vcc, v2, 0x2                          // 
s_cbranch_vccnz label_0151                         // branch to shift d1 r2 mb1
v_cmp_eq_u32 vcc, v2, 0x4                          // 
s_cbranch_vccnz label_0153                         // branch to shift d1 r2 mb2

/******************************************/
/* shift d1 r=3                           */
/******************************************/
label_0155:
v_cmp_eq_u32 vcc, v2, 0x0                          // 
s_cbranch_vccnz label_0156                         // branch to shift d1 r3 mb0
v_cmp_eq_u32 vcc, v2, 0x2                          // 
s_cbranch_vccnz label_0158                         // branch to shift d1 r3 mb1
v_cmp_eq_u32 vcc, v2, 0x4                          // 
s_cbranch_vccnz label_0160                         // branch to shift d1 r3 mb2

/******************************************/
/* shift d1 r=4                           */
/******************************************/
label_0162:
v_cmp_eq_u32 vcc, v2, 0x0                          // 
s_cbranch_vccnz label_0163                         // branch to shift d1 r4 mb0
v_cmp_eq_u32 vcc, v2, 0x2                          // 
s_cbranch_vccnz label_0165                         // branch to shift d1 r4 mb1
v_cmp_eq_u32 vcc, v2, 0x4                          // 
s_cbranch_vccnz label_0167                         // branch to shift d1 r4 mb2

/******************************************/
/* shift d1 r=5                           */
/******************************************/
label_0169:
v_cmp_eq_u32 vcc, v2, 0x0                          // 
s_cbranch_vccnz label_0170                         // branch to shift d1 r5 mb0
v_cmp_eq_u32 vcc, v2, 0x2                          // 
s_cbranch_vccnz label_0172                         // branch to shift d1 r5 mb1
v_cmp_eq_u32 vcc, v2, 0x4                          // 
s_cbranch_vccnz label_0174                         // branch to shift d1 r5 mb2

/******************************************/
/* shift d1 r=6                           */
/******************************************/
label_0176:
v_cmp_eq_u32 vcc, v2, 0x0                          // 
s_cbranch_vccnz label_0177                         // branch to shift d1 r6 mb0
v_cmp_eq_u32 vcc, v2, 0x2                          // 
s_cbranch_vccnz label_0179                         // branch to shift d1 r6 mb1
v_cmp_eq_u32 vcc, v2, 0x4                          // 
s_cbranch_vccnz label_0181                         // branch to shift d1 r6 mb2

/******************************************/
/* shift d1 r=7                           */
/******************************************/
label_0183:
v_cmp_eq_u32 vcc, v2, 0x0                          // 
s_cbranch_vccnz label_0184                         // branch to shift d1 r7 mb0
v_cmp_eq_u32 vcc, v2, 0x2                          // 
s_cbranch_vccnz label_0186                         // branch to shift d1 r7 mb1
v_cmp_eq_u32 vcc, v2, 0x4                          // 
s_cbranch_vccnz label_0188                         // branch to shift d1 r7 mb2

/******************************************/
/* shift d1 r=8                           */
/******************************************/
label_0190:
v_cmp_eq_u32 vcc, v2, 0x0                          // 
s_cbranch_vccnz label_0191                         // branch to shift d1 r8 mb0
v_cmp_eq_u32 vcc, v2, 0x2                          // 
s_cbranch_vccnz label_0193                         // branch to shift d1 r8 mb1
v_cmp_eq_u32 vcc, v2, 0x4                          // 
s_cbranch_vccnz label_0195                         // branch to shift d1 r8 mb2

/******************************************/
/* shift d1 r=9                           */
/******************************************/
label_0197:
v_cmp_eq_u32 vcc, v2, 0x0                          // 
s_cbranch_vccnz label_0198                         // branch to shift d1 r9 mb0
v_cmp_eq_u32 vcc, v2, 0x2                          // 
s_cbranch_vccnz label_0200                         // branch to shift d1 r9 mb1
v_cmp_eq_u32 vcc, v2, 0x4                          // 
s_cbranch_vccnz label_0202                         // branch to shift d1 r9 mb2

/******************************************/
/* shift d1 r=10                          */
/******************************************/
label_0204:
v_cmp_eq_u32 vcc, v2, 0x0                          // 
s_cbranch_vccnz label_0205                         // branch to shift d1 r10 mb0
v_cmp_eq_u32 vcc, v2, 0x2                          // 
s_cbranch_vccnz label_0207                         // branch to shift d1 r10 mb1
v_cmp_eq_u32 vcc, v2, 0x4                          // 
s_cbranch_vccnz label_0209                         // branch to shift d1 r10 mb2

/******************************************/
/* shift d1 r=11                          */
/******************************************/
label_0211:
v_cmp_eq_u32 vcc, v2, 0x0                          // 
s_cbranch_vccnz label_0212                         // branch to shift d1 r11 mb0
v_cmp_eq_u32 vcc, v2, 0x2                          // 
s_cbranch_vccnz label_0214                         // branch to shift d1 r11 mb1
v_cmp_eq_u32 vcc, v2, 0x4                          // 
s_cbranch_vccnz label_0216                         // branch to shift d1 r11 mb2

/******************************************/
/* shift d1 r=12                          */
/******************************************/
label_0218:
v_cmp_eq_u32 vcc, v2, 0x0                          // 
s_cbranch_vccnz label_0219                         // branch to shift d1 r12 mb0
v_cmp_eq_u32 vcc, v2, 0x2                          // 
s_cbranch_vccnz label_0221                         // branch to shift d1 r12 mb1
v_cmp_eq_u32 vcc, v2, 0x4                          // 
s_cbranch_vccnz label_0223                         // branch to shift d1 r12 mb2

/******************************************/
/* shift d1 r=13                          */
/******************************************/
label_0225:
v_cmp_eq_u32 vcc, v2, 0x0                          // 
s_cbranch_vccnz label_0226                         // branch to shift d1 r13 mb0
v_cmp_eq_u32 vcc, v2, 0x2                          // 
s_cbranch_vccnz label_0228                         // branch to shift d1 r13 mb1
v_cmp_eq_u32 vcc, v2, 0x4                          // 
s_cbranch_vccnz label_0230                         // branch to shift d1 r13 mb2

/******************************************/
/* shift d1 r=14                          */
/******************************************/
label_0232:
v_cmp_eq_u32 vcc, v2, 0x0                          // 
s_cbranch_vccnz label_0233                         // branch to shift d1 r14 mb0
v_cmp_eq_u32 vcc, v2, 0x2                          // 
s_cbranch_vccnz label_0235                         // branch to shift d1 r14 mb1
v_cmp_eq_u32 vcc, v2, 0x4                          // 
s_cbranch_vccnz label_0237                         // branch to shift d1 r14 mb2

/******************************************/
/* shift d1 r=15                          */
/******************************************/
label_0239:
v_cmp_eq_u32 vcc, v2, 0x0                          // 
s_cbranch_vccnz label_0240                         // branch to shift d1 r15 mb0
v_cmp_eq_u32 vcc, v2, 0x2                          // 
s_cbranch_vccnz label_0242                         // branch to shift d1 r15 mb1
v_cmp_eq_u32 vcc, v2, 0x4                          // 
s_cbranch_vccnz label_0244                         // branch to shift d1 r15 mb2

/******************************************/
/* shift d1 r=1 mb=0                      */
/******************************************/
label_0142: // r1 mb0 
v_cmp_eq_u32 vcc, v3, 0x0                          // 
s_cbranch_vccnz label_0143                         // branch to shift d1 r1 mb0 vw0

/******************************************/
/* shift d1 r=1 mb=1                      */
/******************************************/
label_0144: // r1 mb1 
v_cmp_eq_u32 vcc, v3, 0x0                          // 
s_cbranch_vccnz label_0145                         // branch to shift d1 r1 mb1 vw0

/******************************************/
/* shift d1 r=1 mb=2                      */
/******************************************/
label_0146: // r1 mb2 
v_cmp_eq_u32 vcc, v3, 0x0                          // 
s_cbranch_vccnz label_0147                         // branch to shift d1 r1 mb2 vw0

/******************************************/
/* shift d1 r=2 mb=0                      */
/******************************************/
label_0149: // r2 mb0 
v_cmp_eq_u32 vcc, v3, 0x0                          // 
s_cbranch_vccnz label_0150                         // branch to shift d1 r2 mb0 vw0

/******************************************/
/* shift d1 r=2 mb=1                      */
/******************************************/
label_0151: // r2 mb1 
v_cmp_eq_u32 vcc, v3, 0x0                          // 
s_cbranch_vccnz label_0152                         // branch to shift d1 r2 mb1 vw0

/******************************************/
/* shift d1 r=2 mb=2                      */
/******************************************/
label_0153: // r2 mb2 
v_cmp_eq_u32 vcc, v3, 0x0                          // 
s_cbranch_vccnz label_0154                         // branch to shift d1 r2 mb2 vw0

/******************************************/
/* shift d1 r=3 mb=0                      */
/******************************************/
label_0156: // r3 mb0 
v_cmp_eq_u32 vcc, v3, 0x0                          // 
s_cbranch_vccnz label_0157                         // branch to shift d1 r3 mb0 vw0

/******************************************/
/* shift d1 r=3 mb=1                      */
/******************************************/
label_0158: // r3 mb1 
v_cmp_eq_u32 vcc, v3, 0x0                          // 
s_cbranch_vccnz label_0159                         // branch to shift d1 r3 mb1 vw0

/******************************************/
/* shift d1 r=3 mb=2                      */
/******************************************/
label_0160: // r3 mb2 
v_cmp_eq_u32 vcc, v3, 0x0                          // 
s_cbranch_vccnz label_0161                         // branch to shift d1 r3 mb2 vw0

/******************************************/
/* shift d1 r=4 mb=0                      */
/******************************************/
label_0163: // r4 mb0 
v_cmp_eq_u32 vcc, v3, 0x0                          // 
s_cbranch_vccnz label_0164                         // branch to shift d1 r4 mb0 vw0

/******************************************/
/* shift d1 r=4 mb=1                      */
/******************************************/
label_0165: // r4 mb1 
v_cmp_eq_u32 vcc, v3, 0x0                          // 
s_cbranch_vccnz label_0166                         // branch to shift d1 r4 mb1 vw0

/******************************************/
/* shift d1 r=4 mb=2                      */
/******************************************/
label_0167: // r4 mb2 
v_cmp_eq_u32 vcc, v3, 0x0                          // 
s_cbranch_vccnz label_0168                         // branch to shift d1 r4 mb2 vw0

/******************************************/
/* shift d1 r=5 mb=0                      */
/******************************************/
label_0170: // r5 mb0 
v_cmp_eq_u32 vcc, v3, 0x0                          // 
s_cbranch_vccnz label_0171                         // branch to shift d1 r5 mb0 vw0

/******************************************/
/* shift d1 r=5 mb=1                      */
/******************************************/
label_0172: // r5 mb1 
v_cmp_eq_u32 vcc, v3, 0x0                          // 
s_cbranch_vccnz label_0173                         // branch to shift d1 r5 mb1 vw0

/******************************************/
/* shift d1 r=5 mb=2                      */
/******************************************/
label_0174: // r5 mb2 
v_cmp_eq_u32 vcc, v3, 0x0                          // 
s_cbranch_vccnz label_0175                         // branch to shift d1 r5 mb2 vw0

/******************************************/
/* shift d1 r=6 mb=0                      */
/******************************************/
label_0177: // r6 mb0 
v_cmp_eq_u32 vcc, v3, 0x0                          // 
s_cbranch_vccnz label_0178                         // branch to shift d1 r6 mb0 vw0

/******************************************/
/* shift d1 r=6 mb=1                      */
/******************************************/
label_0179: // r6 mb1 
v_cmp_eq_u32 vcc, v3, 0x0                          // 
s_cbranch_vccnz label_0180                         // branch to shift d1 r6 mb1 vw0

/******************************************/
/* shift d1 r=6 mb=2                      */
/******************************************/
label_0181: // r6 mb2 
v_cmp_eq_u32 vcc, v3, 0x0                          // 
s_cbranch_vccnz label_0182                         // branch to shift d1 r6 mb2 vw0

/******************************************/
/* shift d1 r=7 mb=0                      */
/******************************************/
label_0184: // r7 mb0 
v_cmp_eq_u32 vcc, v3, 0x0                          // 
s_cbranch_vccnz label_0185                         // branch to shift d1 r7 mb0 vw0

/******************************************/
/* shift d1 r=7 mb=1                      */
/******************************************/
label_0186: // r7 mb1 
v_cmp_eq_u32 vcc, v3, 0x0                          // 
s_cbranch_vccnz label_0187                         // branch to shift d1 r7 mb1 vw0

/******************************************/
/* shift d1 r=7 mb=2                      */
/******************************************/
label_0188: // r7 mb2 
v_cmp_eq_u32 vcc, v3, 0x0                          // 
s_cbranch_vccnz label_0189                         // branch to shift d1 r7 mb2 vw0

/******************************************/
/* shift d1 r=8 mb=0                      */
/******************************************/
label_0191: // r8 mb0 
v_cmp_eq_u32 vcc, v3, 0x0                          // 
s_cbranch_vccnz label_0192                         // branch to shift d1 r8 mb0 vw0

/******************************************/
/* shift d1 r=8 mb=1                      */
/******************************************/
label_0193: // r8 mb1 
v_cmp_eq_u32 vcc, v3, 0x0                          // 
s_cbranch_vccnz label_0194                         // branch to shift d1 r8 mb1 vw0

/******************************************/
/* shift d1 r=8 mb=2                      */
/******************************************/
label_0195: // r8 mb2 
v_cmp_eq_u32 vcc, v3, 0x0                          // 
s_cbranch_vccnz label_0196                         // branch to shift d1 r8 mb2 vw0

/******************************************/
/* shift d1 r=9 mb=0                      */
/******************************************/
label_0198: // r9 mb0 
v_cmp_eq_u32 vcc, v3, 0x0                          // 
s_cbranch_vccnz label_0199                         // branch to shift d1 r9 mb0 vw0

/******************************************/
/* shift d1 r=9 mb=1                      */
/******************************************/
label_0200: // r9 mb1 
v_cmp_eq_u32 vcc, v3, 0x0                          // 
s_cbranch_vccnz label_0201                         // branch to shift d1 r9 mb1 vw0

/******************************************/
/* shift d1 r=9 mb=2                      */
/******************************************/
label_0202: // r9 mb2 
v_cmp_eq_u32 vcc, v3, 0x0                          // 
s_cbranch_vccnz label_0203                         // branch to shift d1 r9 mb2 vw0

/******************************************/
/* shift d1 r=10 mb=0                     */
/******************************************/
label_0205: // r10 mb0 
v_cmp_eq_u32 vcc, v3, 0x0                          // 
s_cbranch_vccnz label_0206                         // branch to shift d1 r10 mb0 vw0

/******************************************/
/* shift d1 r=10 mb=1                     */
/******************************************/
label_0207: // r10 mb1 
v_cmp_eq_u32 vcc, v3, 0x0                          // 
s_cbranch_vccnz label_0208                         // branch to shift d1 r10 mb1 vw0

/******************************************/
/* shift d1 r=10 mb=2                     */
/******************************************/
label_0209: // r10 mb2 
v_cmp_eq_u32 vcc, v3, 0x0                          // 
s_cbranch_vccnz label_0210                         // branch to shift d1 r10 mb2 vw0

/******************************************/
/* shift d1 r=11 mb=0                     */
/******************************************/
label_0212: // r11 mb0 
v_cmp_eq_u32 vcc, v3, 0x0                          // 
s_cbranch_vccnz label_0213                         // branch to shift d1 r11 mb0 vw0

/******************************************/
/* shift d1 r=11 mb=1                     */
/******************************************/
label_0214: // r11 mb1 
v_cmp_eq_u32 vcc, v3, 0x0                          // 
s_cbranch_vccnz label_0215                         // branch to shift d1 r11 mb1 vw0

/******************************************/
/* shift d1 r=11 mb=2                     */
/******************************************/
label_0216: // r11 mb2 
v_cmp_eq_u32 vcc, v3, 0x0                          // 
s_cbranch_vccnz label_0217                         // branch to shift d1 r11 mb2 vw0

/******************************************/
/* shift d1 r=12 mb=0                     */
/******************************************/
label_0219: // r12 mb0 
v_cmp_eq_u32 vcc, v3, 0x0                          // 
s_cbranch_vccnz label_0220                         // branch to shift d1 r12 mb0 vw0

/******************************************/
/* shift d1 r=12 mb=1                     */
/******************************************/
label_0221: // r12 mb1 
v_cmp_eq_u32 vcc, v3, 0x0                          // 
s_cbranch_vccnz label_0222                         // branch to shift d1 r12 mb1 vw0

/******************************************/
/* shift d1 r=12 mb=2                     */
/******************************************/
label_0223: // r12 mb2 
v_cmp_eq_u32 vcc, v3, 0x0                          // 
s_cbranch_vccnz label_0224                         // branch to shift d1 r12 mb2 vw0

/******************************************/
/* shift d1 r=13 mb=0                     */
/******************************************/
label_0226: // r13 mb0 
v_cmp_eq_u32 vcc, v3, 0x0                          // 
s_cbranch_vccnz label_0227                         // branch to shift d1 r13 mb0 vw0

/******************************************/
/* shift d1 r=13 mb=1                     */
/******************************************/
label_0228: // r13 mb1 
v_cmp_eq_u32 vcc, v3, 0x0                          // 
s_cbranch_vccnz label_0229                         // branch to shift d1 r13 mb1 vw0

/******************************************/
/* shift d1 r=13 mb=2                     */
/******************************************/
label_0230: // r13 mb2 
v_cmp_eq_u32 vcc, v3, 0x0                          // 
s_cbranch_vccnz label_0231                         // branch to shift d1 r13 mb2 vw0

/******************************************/
/* shift d1 r=14 mb=0                     */
/******************************************/
label_0233: // r14 mb0 
v_cmp_eq_u32 vcc, v3, 0x0                          // 
s_cbranch_vccnz label_0234                         // branch to shift d1 r14 mb0 vw0

/******************************************/
/* shift d1 r=14 mb=1                     */
/******************************************/
label_0235: // r14 mb1 
v_cmp_eq_u32 vcc, v3, 0x0                          // 
s_cbranch_vccnz label_0236                         // branch to shift d1 r14 mb1 vw0

/******************************************/
/* shift d1 r=14 mb=2                     */
/******************************************/
label_0237: // r14 mb2 
v_cmp_eq_u32 vcc, v3, 0x0                          // 
s_cbranch_vccnz label_0238                         // branch to shift d1 r14 mb2 vw0

/******************************************/
/* shift d1 r=15 mb=0                     */
/******************************************/
label_0240: // r15 mb0 
v_cmp_eq_u32 vcc, v3, 0x0                          // 
s_cbranch_vccnz label_0241                         // branch to shift d1 r15 mb0 vw0

/******************************************/
/* shift d1 r=15 mb=1                     */
/******************************************/
label_0242: // r15 mb1 
v_cmp_eq_u32 vcc, v3, 0x0                          // 
s_cbranch_vccnz label_0243                         // branch to shift d1 r15 mb1 vw0

/******************************************/
/* shift d1 r=15 mb=2                     */
/******************************************/
label_0244: // r15 mb2 
v_cmp_eq_u32 vcc, v3, 0x0                          // 
s_cbranch_vccnz label_0245                         // branch to shift d1 r15 mb2 vw0

/******************************************/
/* shift d1 r=1 mb=0 vw0                  */
/******************************************/
label_0143: // r1 mb0 vw0 
s_mov_b32 s32, 0                                   // 
_v_cmpx_eq_u32 s[32:33], v4, s32                   // is thread in edge glvw region
v_and_b32 v0, 63, v[vgprSerial]                    // permute register between threads
v_lshlrev_b32 v0, 2, v0                            // permute register between threads
v_accvgpr_read_b32 v5, acc0                        // glvw 1 mb 0 tt1 0 r 0
s_nop 1                                            // v_accvgpr read vgpr after write vgpr: 2 wait states
ds_bpermute_b32 v5, v0, v5, offset:60              // permute edge values
s_waitcnt 0                                        // wait for swizzle operation
v_accvgpr_write_b32 acc0, v5                       // 
v_accvgpr_read_b32 v5, acc1                        // glvw 1 mb 0 tt1 1 r 0
s_nop 1                                            // v_accvgpr read vgpr after write vgpr: 2 wait states
ds_bpermute_b32 v5, v0, v5, offset:60              // permute edge values
s_waitcnt 0                                        // wait for swizzle operation
v_accvgpr_write_b32 acc1, v5                       // 
v_accvgpr_read_b32 v5, acc2                        // glvw 1 mb 0 tt1 2 r 0
s_nop 1                                            // v_accvgpr read vgpr after write vgpr: 2 wait states
ds_bpermute_b32 v5, v0, v5, offset:60              // permute edge values
s_waitcnt 0                                        // wait for swizzle operation
v_accvgpr_write_b32 acc2, v5                       // 
v_accvgpr_read_b32 v5, acc3                        // glvw 1 mb 0 tt1 3 r 0
s_nop 1                                            // v_accvgpr read vgpr after write vgpr: 2 wait states
ds_bpermute_b32 v5, v0, v5, offset:60              // permute edge values
s_waitcnt 0                                        // wait for swizzle operation
v_accvgpr_write_b32 acc3, v5                       // 
v_accvgpr_read_b32 v5, acc4                        // glvw 1 mb 0 tt1 4 r 0
s_nop 1                                            // v_accvgpr read vgpr after write vgpr: 2 wait states
ds_bpermute_b32 v5, v0, v5, offset:60              // permute edge values
s_waitcnt 0                                        // wait for swizzle operation
v_accvgpr_write_b32 acc4, v5                       // 
v_accvgpr_read_b32 v5, acc5                        // glvw 1 mb 0 tt1 5 r 0
s_nop 1                                            // v_accvgpr read vgpr after write vgpr: 2 wait states
ds_bpermute_b32 v5, v0, v5, offset:60              // permute edge values
s_waitcnt 0                                        // wait for swizzle operation
v_accvgpr_write_b32 acc5, v5                       // 
v_accvgpr_read_b32 v5, acc6                        // glvw 1 mb 0 tt1 6 r 0
s_nop 1                                            // v_accvgpr read vgpr after write vgpr: 2 wait states
ds_bpermute_b32 v5, v0, v5, offset:60              // permute edge values
s_waitcnt 0                                        // wait for swizzle operation
v_accvgpr_write_b32 acc6, v5                       // 
v_accvgpr_read_b32 v5, acc7                        // glvw 1 mb 0 tt1 7 r 0
s_nop 1                                            // v_accvgpr read vgpr after write vgpr: 2 wait states
ds_bpermute_b32 v5, v0, v5, offset:60              // permute edge values
s_waitcnt 0                                        // wait for swizzle operation
v_accvgpr_write_b32 acc7, v5                       // 
v_accvgpr_read_b32 v5, acc8                        // glvw 1 mb 0 tt1 8 r 0
s_nop 1                                            // v_accvgpr read vgpr after write vgpr: 2 wait states
ds_bpermute_b32 v5, v0, v5, offset:60              // permute edge values
s_waitcnt 0                                        // wait for swizzle operation
v_accvgpr_write_b32 acc8, v5                       // 
v_accvgpr_read_b32 v5, acc9                        // glvw 1 mb 0 tt1 9 r 0
s_nop 1                                            // v_accvgpr read vgpr after write vgpr: 2 wait states
ds_bpermute_b32 v5, v0, v5, offset:60              // permute edge values
s_waitcnt 0                                        // wait for swizzle operation
v_accvgpr_write_b32 acc9, v5                       // 
v_accvgpr_read_b32 v5, acc10                       // glvw 1 mb 0 tt1 10 r 0
s_nop 1                                            // v_accvgpr read vgpr after write vgpr: 2 wait states
ds_bpermute_b32 v5, v0, v5, offset:60              // permute edge values
s_waitcnt 0                                        // wait for swizzle operation
v_accvgpr_write_b32 acc10, v5                      // 
v_accvgpr_read_b32 v5, acc11                       // glvw 1 mb 0 tt1 11 r 0
s_nop 1                                            // v_accvgpr read vgpr after write vgpr: 2 wait states
ds_bpermute_b32 v5, v0, v5, offset:60              // permute edge values
s_waitcnt 0                                        // wait for swizzle operation
v_accvgpr_write_b32 acc11, v5                      // 
s_mov_b64 s[32:33], 0xFFFFFFFFFFFFFFFF             // to restore all threads active
s_or_saveexec_b64 vcc, s[32:33]                    // all threads active
s_branch label_0246                                // done shifting


/******************************************/
/* shift d1 r=1 mb=1 vw0                  */
/******************************************/
label_0145: // r1 mb1 vw0 
s_mov_b32 s32, 2                                   // 
_v_cmpx_eq_u32 s[32:33], v4, s32                   // is thread in edge glvw region
v_and_b32 v0, 63, v[vgprSerial]                    // permute register between threads
v_lshlrev_b32 v0, 2, v0                            // permute register between threads
v_accvgpr_read_b32 v5, acc12                       // glvw 1 mb 1 tt1 0 r 0
s_nop 1                                            // v_accvgpr read vgpr after write vgpr: 2 wait states
ds_bpermute_b32 v5, v0, v5, offset:60              // permute edge values
s_waitcnt 0                                        // wait for swizzle operation
v_accvgpr_write_b32 acc12, v5                      // 
v_accvgpr_read_b32 v5, acc13                       // glvw 1 mb 1 tt1 1 r 0
s_nop 1                                            // v_accvgpr read vgpr after write vgpr: 2 wait states
ds_bpermute_b32 v5, v0, v5, offset:60              // permute edge values
s_waitcnt 0                                        // wait for swizzle operation
v_accvgpr_write_b32 acc13, v5                      // 
v_accvgpr_read_b32 v5, acc14                       // glvw 1 mb 1 tt1 2 r 0
s_nop 1                                            // v_accvgpr read vgpr after write vgpr: 2 wait states
ds_bpermute_b32 v5, v0, v5, offset:60              // permute edge values
s_waitcnt 0                                        // wait for swizzle operation
v_accvgpr_write_b32 acc14, v5                      // 
v_accvgpr_read_b32 v5, acc15                       // glvw 1 mb 1 tt1 3 r 0
s_nop 1                                            // v_accvgpr read vgpr after write vgpr: 2 wait states
ds_bpermute_b32 v5, v0, v5, offset:60              // permute edge values
s_waitcnt 0                                        // wait for swizzle operation
v_accvgpr_write_b32 acc15, v5                      // 
v_accvgpr_read_b32 v5, acc16                       // glvw 1 mb 1 tt1 4 r 0
s_nop 1                                            // v_accvgpr read vgpr after write vgpr: 2 wait states
ds_bpermute_b32 v5, v0, v5, offset:60              // permute edge values
s_waitcnt 0                                        // wait for swizzle operation
v_accvgpr_write_b32 acc16, v5                      // 
v_accvgpr_read_b32 v5, acc17                       // glvw 1 mb 1 tt1 5 r 0
s_nop 1                                            // v_accvgpr read vgpr after write vgpr: 2 wait states
ds_bpermute_b32 v5, v0, v5, offset:60              // permute edge values
s_waitcnt 0                                        // wait for swizzle operation
v_accvgpr_write_b32 acc17, v5                      // 
v_accvgpr_read_b32 v5, acc18                       // glvw 1 mb 1 tt1 6 r 0
s_nop 1                                            // v_accvgpr read vgpr after write vgpr: 2 wait states
ds_bpermute_b32 v5, v0, v5, offset:60              // permute edge values
s_waitcnt 0                                        // wait for swizzle operation
v_accvgpr_write_b32 acc18, v5                      // 
v_accvgpr_read_b32 v5, acc19                       // glvw 1 mb 1 tt1 7 r 0
s_nop 1                                            // v_accvgpr read vgpr after write vgpr: 2 wait states
ds_bpermute_b32 v5, v0, v5, offset:60              // permute edge values
s_waitcnt 0                                        // wait for swizzle operation
v_accvgpr_write_b32 acc19, v5                      // 
v_accvgpr_read_b32 v5, acc20                       // glvw 1 mb 1 tt1 8 r 0
s_nop 1                                            // v_accvgpr read vgpr after write vgpr: 2 wait states
ds_bpermute_b32 v5, v0, v5, offset:60              // permute edge values
s_waitcnt 0                                        // wait for swizzle operation
v_accvgpr_write_b32 acc20, v5                      // 
v_accvgpr_read_b32 v5, acc21                       // glvw 1 mb 1 tt1 9 r 0
s_nop 1                                            // v_accvgpr read vgpr after write vgpr: 2 wait states
ds_bpermute_b32 v5, v0, v5, offset:60              // permute edge values
s_waitcnt 0                                        // wait for swizzle operation
v_accvgpr_write_b32 acc21, v5                      // 
v_accvgpr_read_b32 v5, acc22                       // glvw 1 mb 1 tt1 10 r 0
s_nop 1                                            // v_accvgpr read vgpr after write vgpr: 2 wait states
ds_bpermute_b32 v5, v0, v5, offset:60              // permute edge values
s_waitcnt 0                                        // wait for swizzle operation
v_accvgpr_write_b32 acc22, v5                      // 
v_accvgpr_read_b32 v5, acc23                       // glvw 1 mb 1 tt1 11 r 0
s_nop 1                                            // v_accvgpr read vgpr after write vgpr: 2 wait states
ds_bpermute_b32 v5, v0, v5, offset:60              // permute edge values
s_waitcnt 0                                        // wait for swizzle operation
v_accvgpr_write_b32 acc23, v5                      // 
s_mov_b64 s[32:33], 0xFFFFFFFFFFFFFFFF             // to restore all threads active
s_or_saveexec_b64 vcc, s[32:33]                    // all threads active
s_branch label_0246                                // done shifting


/******************************************/
/* shift d1 r=1 mb=2 vw0                  */
/******************************************/
label_0147: // r1 mb2 vw0 
s_mov_b32 s32, 4                                   // 
_v_cmpx_eq_u32 s[32:33], v4, s32                   // is thread in edge glvw region
v_and_b32 v0, 63, v[vgprSerial]                    // permute register between threads
v_lshlrev_b32 v0, 2, v0                            // permute register between threads
v_accvgpr_read_b32 v5, acc24                       // glvw 1 mb 2 tt1 0 r 0
s_nop 1                                            // v_accvgpr read vgpr after write vgpr: 2 wait states
ds_bpermute_b32 v5, v0, v5, offset:60              // permute edge values
s_waitcnt 0                                        // wait for swizzle operation
v_accvgpr_write_b32 acc24, v5                      // 
v_accvgpr_read_b32 v5, acc25                       // glvw 1 mb 2 tt1 1 r 0
s_nop 1                                            // v_accvgpr read vgpr after write vgpr: 2 wait states
ds_bpermute_b32 v5, v0, v5, offset:60              // permute edge values
s_waitcnt 0                                        // wait for swizzle operation
v_accvgpr_write_b32 acc25, v5                      // 
v_accvgpr_read_b32 v5, acc26                       // glvw 1 mb 2 tt1 2 r 0
s_nop 1                                            // v_accvgpr read vgpr after write vgpr: 2 wait states
ds_bpermute_b32 v5, v0, v5, offset:60              // permute edge values
s_waitcnt 0                                        // wait for swizzle operation
v_accvgpr_write_b32 acc26, v5                      // 
v_accvgpr_read_b32 v5, acc27                       // glvw 1 mb 2 tt1 3 r 0
s_nop 1                                            // v_accvgpr read vgpr after write vgpr: 2 wait states
ds_bpermute_b32 v5, v0, v5, offset:60              // permute edge values
s_waitcnt 0                                        // wait for swizzle operation
v_accvgpr_write_b32 acc27, v5                      // 
v_accvgpr_read_b32 v5, acc28                       // glvw 1 mb 2 tt1 4 r 0
s_nop 1                                            // v_accvgpr read vgpr after write vgpr: 2 wait states
ds_bpermute_b32 v5, v0, v5, offset:60              // permute edge values
s_waitcnt 0                                        // wait for swizzle operation
v_accvgpr_write_b32 acc28, v5                      // 
v_accvgpr_read_b32 v5, acc29                       // glvw 1 mb 2 tt1 5 r 0
s_nop 1                                            // v_accvgpr read vgpr after write vgpr: 2 wait states
ds_bpermute_b32 v5, v0, v5, offset:60              // permute edge values
s_waitcnt 0                                        // wait for swizzle operation
v_accvgpr_write_b32 acc29, v5                      // 
v_accvgpr_read_b32 v5, acc30                       // glvw 1 mb 2 tt1 6 r 0
s_nop 1                                            // v_accvgpr read vgpr after write vgpr: 2 wait states
ds_bpermute_b32 v5, v0, v5, offset:60              // permute edge values
s_waitcnt 0                                        // wait for swizzle operation
v_accvgpr_write_b32 acc30, v5                      // 
v_accvgpr_read_b32 v5, acc31                       // glvw 1 mb 2 tt1 7 r 0
s_nop 1                                            // v_accvgpr read vgpr after write vgpr: 2 wait states
ds_bpermute_b32 v5, v0, v5, offset:60              // permute edge values
s_waitcnt 0                                        // wait for swizzle operation
v_accvgpr_write_b32 acc31, v5                      // 
v_accvgpr_read_b32 v5, acc32                       // glvw 1 mb 2 tt1 8 r 0
s_nop 1                                            // v_accvgpr read vgpr after write vgpr: 2 wait states
ds_bpermute_b32 v5, v0, v5, offset:60              // permute edge values
s_waitcnt 0                                        // wait for swizzle operation
v_accvgpr_write_b32 acc32, v5                      // 
v_accvgpr_read_b32 v5, acc33                       // glvw 1 mb 2 tt1 9 r 0
s_nop 1                                            // v_accvgpr read vgpr after write vgpr: 2 wait states
ds_bpermute_b32 v5, v0, v5, offset:60              // permute edge values
s_waitcnt 0                                        // wait for swizzle operation
v_accvgpr_write_b32 acc33, v5                      // 
v_accvgpr_read_b32 v5, acc34                       // glvw 1 mb 2 tt1 10 r 0
s_nop 1                                            // v_accvgpr read vgpr after write vgpr: 2 wait states
ds_bpermute_b32 v5, v0, v5, offset:60              // permute edge values
s_waitcnt 0                                        // wait for swizzle operation
v_accvgpr_write_b32 acc34, v5                      // 
v_accvgpr_read_b32 v5, acc35                       // glvw 1 mb 2 tt1 11 r 0
s_nop 1                                            // v_accvgpr read vgpr after write vgpr: 2 wait states
ds_bpermute_b32 v5, v0, v5, offset:60              // permute edge values
s_waitcnt 0                                        // wait for swizzle operation
v_accvgpr_write_b32 acc35, v5                      // 
s_mov_b64 s[32:33], 0xFFFFFFFFFFFFFFFF             // to restore all threads active
s_or_saveexec_b64 vcc, s[32:33]                    // all threads active
s_branch label_0246                                // done shifting


/******************************************/
/* shift d1 r=2 mb=0 vw0                  */
/******************************************/
label_0150: // r2 mb0 vw0 
s_mov_b32 s32, 0                                   // 
_v_cmpx_eq_u32 s[32:33], v4, s32                   // is thread in edge glvw region
v_and_b32 v0, 63, v[vgprSerial]                    // permute register between threads
v_lshlrev_b32 v0, 2, v0                            // permute register between threads
v_accvgpr_read_b32 v5, acc0                        // glvw 2 mb 0 tt1 0 r 0
s_nop 1                                            // v_accvgpr read vgpr after write vgpr: 2 wait states
ds_bpermute_b32 v5, v0, v5, offset:56              // permute edge values
s_waitcnt 0                                        // wait for swizzle operation
v_accvgpr_write_b32 acc0, v5                       // 
v_accvgpr_read_b32 v5, acc1                        // glvw 2 mb 0 tt1 1 r 0
s_nop 1                                            // v_accvgpr read vgpr after write vgpr: 2 wait states
ds_bpermute_b32 v5, v0, v5, offset:56              // permute edge values
s_waitcnt 0                                        // wait for swizzle operation
v_accvgpr_write_b32 acc1, v5                       // 
v_accvgpr_read_b32 v5, acc2                        // glvw 2 mb 0 tt1 2 r 0
s_nop 1                                            // v_accvgpr read vgpr after write vgpr: 2 wait states
ds_bpermute_b32 v5, v0, v5, offset:56              // permute edge values
s_waitcnt 0                                        // wait for swizzle operation
v_accvgpr_write_b32 acc2, v5                       // 
v_accvgpr_read_b32 v5, acc3                        // glvw 2 mb 0 tt1 3 r 0
s_nop 1                                            // v_accvgpr read vgpr after write vgpr: 2 wait states
ds_bpermute_b32 v5, v0, v5, offset:56              // permute edge values
s_waitcnt 0                                        // wait for swizzle operation
v_accvgpr_write_b32 acc3, v5                       // 
v_accvgpr_read_b32 v5, acc4                        // glvw 2 mb 0 tt1 4 r 0
s_nop 1                                            // v_accvgpr read vgpr after write vgpr: 2 wait states
ds_bpermute_b32 v5, v0, v5, offset:56              // permute edge values
s_waitcnt 0                                        // wait for swizzle operation
v_accvgpr_write_b32 acc4, v5                       // 
v_accvgpr_read_b32 v5, acc5                        // glvw 2 mb 0 tt1 5 r 0
s_nop 1                                            // v_accvgpr read vgpr after write vgpr: 2 wait states
ds_bpermute_b32 v5, v0, v5, offset:56              // permute edge values
s_waitcnt 0                                        // wait for swizzle operation
v_accvgpr_write_b32 acc5, v5                       // 
v_accvgpr_read_b32 v5, acc6                        // glvw 2 mb 0 tt1 6 r 0
s_nop 1                                            // v_accvgpr read vgpr after write vgpr: 2 wait states
ds_bpermute_b32 v5, v0, v5, offset:56              // permute edge values
s_waitcnt 0                                        // wait for swizzle operation
v_accvgpr_write_b32 acc6, v5                       // 
v_accvgpr_read_b32 v5, acc7                        // glvw 2 mb 0 tt1 7 r 0
s_nop 1                                            // v_accvgpr read vgpr after write vgpr: 2 wait states
ds_bpermute_b32 v5, v0, v5, offset:56              // permute edge values
s_waitcnt 0                                        // wait for swizzle operation
v_accvgpr_write_b32 acc7, v5                       // 
v_accvgpr_read_b32 v5, acc8                        // glvw 2 mb 0 tt1 8 r 0
s_nop 1                                            // v_accvgpr read vgpr after write vgpr: 2 wait states
ds_bpermute_b32 v5, v0, v5, offset:56              // permute edge values
s_waitcnt 0                                        // wait for swizzle operation
v_accvgpr_write_b32 acc8, v5                       // 
v_accvgpr_read_b32 v5, acc9                        // glvw 2 mb 0 tt1 9 r 0
s_nop 1                                            // v_accvgpr read vgpr after write vgpr: 2 wait states
ds_bpermute_b32 v5, v0, v5, offset:56              // permute edge values
s_waitcnt 0                                        // wait for swizzle operation
v_accvgpr_write_b32 acc9, v5                       // 
v_accvgpr_read_b32 v5, acc10                       // glvw 2 mb 0 tt1 10 r 0
s_nop 1                                            // v_accvgpr read vgpr after write vgpr: 2 wait states
ds_bpermute_b32 v5, v0, v5, offset:56              // permute edge values
s_waitcnt 0                                        // wait for swizzle operation
v_accvgpr_write_b32 acc10, v5                      // 
v_accvgpr_read_b32 v5, acc11                       // glvw 2 mb 0 tt1 11 r 0
s_nop 1                                            // v_accvgpr read vgpr after write vgpr: 2 wait states
ds_bpermute_b32 v5, v0, v5, offset:56              // permute edge values
s_waitcnt 0                                        // wait for swizzle operation
v_accvgpr_write_b32 acc11, v5                      // 
s_mov_b64 s[32:33], 0xFFFFFFFFFFFFFFFF             // to restore all threads active
s_or_saveexec_b64 vcc, s[32:33]                    // all threads active
s_branch label_0246                                // done shifting


/******************************************/
/* shift d1 r=2 mb=1 vw0                  */
/******************************************/
label_0152: // r2 mb1 vw0 
s_mov_b32 s32, 2                                   // 
_v_cmpx_eq_u32 s[32:33], v4, s32                   // is thread in edge glvw region
v_and_b32 v0, 63, v[vgprSerial]                    // permute register between threads
v_lshlrev_b32 v0, 2, v0                            // permute register between threads
v_accvgpr_read_b32 v5, acc12                       // glvw 2 mb 1 tt1 0 r 0
s_nop 1                                            // v_accvgpr read vgpr after write vgpr: 2 wait states
ds_bpermute_b32 v5, v0, v5, offset:56              // permute edge values
s_waitcnt 0                                        // wait for swizzle operation
v_accvgpr_write_b32 acc12, v5                      // 
v_accvgpr_read_b32 v5, acc13                       // glvw 2 mb 1 tt1 1 r 0
s_nop 1                                            // v_accvgpr read vgpr after write vgpr: 2 wait states
ds_bpermute_b32 v5, v0, v5, offset:56              // permute edge values
s_waitcnt 0                                        // wait for swizzle operation
v_accvgpr_write_b32 acc13, v5                      // 
v_accvgpr_read_b32 v5, acc14                       // glvw 2 mb 1 tt1 2 r 0
s_nop 1                                            // v_accvgpr read vgpr after write vgpr: 2 wait states
ds_bpermute_b32 v5, v0, v5, offset:56              // permute edge values
s_waitcnt 0                                        // wait for swizzle operation
v_accvgpr_write_b32 acc14, v5                      // 
v_accvgpr_read_b32 v5, acc15                       // glvw 2 mb 1 tt1 3 r 0
s_nop 1                                            // v_accvgpr read vgpr after write vgpr: 2 wait states
ds_bpermute_b32 v5, v0, v5, offset:56              // permute edge values
s_waitcnt 0                                        // wait for swizzle operation
v_accvgpr_write_b32 acc15, v5                      // 
v_accvgpr_read_b32 v5, acc16                       // glvw 2 mb 1 tt1 4 r 0
s_nop 1                                            // v_accvgpr read vgpr after write vgpr: 2 wait states
ds_bpermute_b32 v5, v0, v5, offset:56              // permute edge values
s_waitcnt 0                                        // wait for swizzle operation
v_accvgpr_write_b32 acc16, v5                      // 
v_accvgpr_read_b32 v5, acc17                       // glvw 2 mb 1 tt1 5 r 0
s_nop 1                                            // v_accvgpr read vgpr after write vgpr: 2 wait states
ds_bpermute_b32 v5, v0, v5, offset:56              // permute edge values
s_waitcnt 0                                        // wait for swizzle operation
v_accvgpr_write_b32 acc17, v5                      // 
v_accvgpr_read_b32 v5, acc18                       // glvw 2 mb 1 tt1 6 r 0
s_nop 1                                            // v_accvgpr read vgpr after write vgpr: 2 wait states
ds_bpermute_b32 v5, v0, v5, offset:56              // permute edge values
s_waitcnt 0                                        // wait for swizzle operation
v_accvgpr_write_b32 acc18, v5                      // 
v_accvgpr_read_b32 v5, acc19                       // glvw 2 mb 1 tt1 7 r 0
s_nop 1                                            // v_accvgpr read vgpr after write vgpr: 2 wait states
ds_bpermute_b32 v5, v0, v5, offset:56              // permute edge values
s_waitcnt 0                                        // wait for swizzle operation
v_accvgpr_write_b32 acc19, v5                      // 
v_accvgpr_read_b32 v5, acc20                       // glvw 2 mb 1 tt1 8 r 0
s_nop 1                                            // v_accvgpr read vgpr after write vgpr: 2 wait states
ds_bpermute_b32 v5, v0, v5, offset:56              // permute edge values
s_waitcnt 0                                        // wait for swizzle operation
v_accvgpr_write_b32 acc20, v5                      // 
v_accvgpr_read_b32 v5, acc21                       // glvw 2 mb 1 tt1 9 r 0
s_nop 1                                            // v_accvgpr read vgpr after write vgpr: 2 wait states
ds_bpermute_b32 v5, v0, v5, offset:56              // permute edge values
s_waitcnt 0                                        // wait for swizzle operation
v_accvgpr_write_b32 acc21, v5                      // 
v_accvgpr_read_b32 v5, acc22                       // glvw 2 mb 1 tt1 10 r 0
s_nop 1                                            // v_accvgpr read vgpr after write vgpr: 2 wait states
ds_bpermute_b32 v5, v0, v5, offset:56              // permute edge values
s_waitcnt 0                                        // wait for swizzle operation
v_accvgpr_write_b32 acc22, v5                      // 
v_accvgpr_read_b32 v5, acc23                       // glvw 2 mb 1 tt1 11 r 0
s_nop 1                                            // v_accvgpr read vgpr after write vgpr: 2 wait states
ds_bpermute_b32 v5, v0, v5, offset:56              // permute edge values
s_waitcnt 0                                        // wait for swizzle operation
v_accvgpr_write_b32 acc23, v5                      // 
s_mov_b64 s[32:33], 0xFFFFFFFFFFFFFFFF             // to restore all threads active
s_or_saveexec_b64 vcc, s[32:33]                    // all threads active
s_branch label_0246                                // done shifting


/******************************************/
/* shift d1 r=2 mb=2 vw0                  */
/******************************************/
label_0154: // r2 mb2 vw0 
s_mov_b32 s32, 4                                   // 
_v_cmpx_eq_u32 s[32:33], v4, s32                   // is thread in edge glvw region
v_and_b32 v0, 63, v[vgprSerial]                    // permute register between threads
v_lshlrev_b32 v0, 2, v0                            // permute register between threads
v_accvgpr_read_b32 v5, acc24                       // glvw 2 mb 2 tt1 0 r 0
s_nop 1                                            // v_accvgpr read vgpr after write vgpr: 2 wait states
ds_bpermute_b32 v5, v0, v5, offset:56              // permute edge values
s_waitcnt 0                                        // wait for swizzle operation
v_accvgpr_write_b32 acc24, v5                      // 
v_accvgpr_read_b32 v5, acc25                       // glvw 2 mb 2 tt1 1 r 0
s_nop 1                                            // v_accvgpr read vgpr after write vgpr: 2 wait states
ds_bpermute_b32 v5, v0, v5, offset:56              // permute edge values
s_waitcnt 0                                        // wait for swizzle operation
v_accvgpr_write_b32 acc25, v5                      // 
v_accvgpr_read_b32 v5, acc26                       // glvw 2 mb 2 tt1 2 r 0
s_nop 1                                            // v_accvgpr read vgpr after write vgpr: 2 wait states
ds_bpermute_b32 v5, v0, v5, offset:56              // permute edge values
s_waitcnt 0                                        // wait for swizzle operation
v_accvgpr_write_b32 acc26, v5                      // 
v_accvgpr_read_b32 v5, acc27                       // glvw 2 mb 2 tt1 3 r 0
s_nop 1                                            // v_accvgpr read vgpr after write vgpr: 2 wait states
ds_bpermute_b32 v5, v0, v5, offset:56              // permute edge values
s_waitcnt 0                                        // wait for swizzle operation
v_accvgpr_write_b32 acc27, v5                      // 
v_accvgpr_read_b32 v5, acc28                       // glvw 2 mb 2 tt1 4 r 0
s_nop 1                                            // v_accvgpr read vgpr after write vgpr: 2 wait states
ds_bpermute_b32 v5, v0, v5, offset:56              // permute edge values
s_waitcnt 0                                        // wait for swizzle operation
v_accvgpr_write_b32 acc28, v5                      // 
v_accvgpr_read_b32 v5, acc29                       // glvw 2 mb 2 tt1 5 r 0
s_nop 1                                            // v_accvgpr read vgpr after write vgpr: 2 wait states
ds_bpermute_b32 v5, v0, v5, offset:56              // permute edge values
s_waitcnt 0                                        // wait for swizzle operation
v_accvgpr_write_b32 acc29, v5                      // 
v_accvgpr_read_b32 v5, acc30                       // glvw 2 mb 2 tt1 6 r 0
s_nop 1                                            // v_accvgpr read vgpr after write vgpr: 2 wait states
ds_bpermute_b32 v5, v0, v5, offset:56              // permute edge values
s_waitcnt 0                                        // wait for swizzle operation
v_accvgpr_write_b32 acc30, v5                      // 
v_accvgpr_read_b32 v5, acc31                       // glvw 2 mb 2 tt1 7 r 0
s_nop 1                                            // v_accvgpr read vgpr after write vgpr: 2 wait states
ds_bpermute_b32 v5, v0, v5, offset:56              // permute edge values
s_waitcnt 0                                        // wait for swizzle operation
v_accvgpr_write_b32 acc31, v5                      // 
v_accvgpr_read_b32 v5, acc32                       // glvw 2 mb 2 tt1 8 r 0
s_nop 1                                            // v_accvgpr read vgpr after write vgpr: 2 wait states
ds_bpermute_b32 v5, v0, v5, offset:56              // permute edge values
s_waitcnt 0                                        // wait for swizzle operation
v_accvgpr_write_b32 acc32, v5                      // 
v_accvgpr_read_b32 v5, acc33                       // glvw 2 mb 2 tt1 9 r 0
s_nop 1                                            // v_accvgpr read vgpr after write vgpr: 2 wait states
ds_bpermute_b32 v5, v0, v5, offset:56              // permute edge values
s_waitcnt 0                                        // wait for swizzle operation
v_accvgpr_write_b32 acc33, v5                      // 
v_accvgpr_read_b32 v5, acc34                       // glvw 2 mb 2 tt1 10 r 0
s_nop 1                                            // v_accvgpr read vgpr after write vgpr: 2 wait states
ds_bpermute_b32 v5, v0, v5, offset:56              // permute edge values
s_waitcnt 0                                        // wait for swizzle operation
v_accvgpr_write_b32 acc34, v5                      // 
v_accvgpr_read_b32 v5, acc35                       // glvw 2 mb 2 tt1 11 r 0
s_nop 1                                            // v_accvgpr read vgpr after write vgpr: 2 wait states
ds_bpermute_b32 v5, v0, v5, offset:56              // permute edge values
s_waitcnt 0                                        // wait for swizzle operation
v_accvgpr_write_b32 acc35, v5                      // 
s_mov_b64 s[32:33], 0xFFFFFFFFFFFFFFFF             // to restore all threads active
s_or_saveexec_b64 vcc, s[32:33]                    // all threads active
s_branch label_0246                                // done shifting


/******************************************/
/* shift d1 r=3 mb=0 vw0                  */
/******************************************/
label_0157: // r3 mb0 vw0 
s_mov_b32 s32, 0                                   // 
_v_cmpx_eq_u32 s[32:33], v4, s32                   // is thread in edge glvw region
v_and_b32 v0, 63, v[vgprSerial]                    // permute register between threads
v_lshlrev_b32 v0, 2, v0                            // permute register between threads
v_accvgpr_read_b32 v5, acc0                        // glvw 3 mb 0 tt1 0 r 0
s_nop 1                                            // v_accvgpr read vgpr after write vgpr: 2 wait states
ds_bpermute_b32 v5, v0, v5, offset:52              // permute edge values
s_waitcnt 0                                        // wait for swizzle operation
v_accvgpr_write_b32 acc0, v5                       // 
v_accvgpr_read_b32 v5, acc1                        // glvw 3 mb 0 tt1 1 r 0
s_nop 1                                            // v_accvgpr read vgpr after write vgpr: 2 wait states
ds_bpermute_b32 v5, v0, v5, offset:52              // permute edge values
s_waitcnt 0                                        // wait for swizzle operation
v_accvgpr_write_b32 acc1, v5                       // 
v_accvgpr_read_b32 v5, acc2                        // glvw 3 mb 0 tt1 2 r 0
s_nop 1                                            // v_accvgpr read vgpr after write vgpr: 2 wait states
ds_bpermute_b32 v5, v0, v5, offset:52              // permute edge values
s_waitcnt 0                                        // wait for swizzle operation
v_accvgpr_write_b32 acc2, v5                       // 
v_accvgpr_read_b32 v5, acc3                        // glvw 3 mb 0 tt1 3 r 0
s_nop 1                                            // v_accvgpr read vgpr after write vgpr: 2 wait states
ds_bpermute_b32 v5, v0, v5, offset:52              // permute edge values
s_waitcnt 0                                        // wait for swizzle operation
v_accvgpr_write_b32 acc3, v5                       // 
v_accvgpr_read_b32 v5, acc4                        // glvw 3 mb 0 tt1 4 r 0
s_nop 1                                            // v_accvgpr read vgpr after write vgpr: 2 wait states
ds_bpermute_b32 v5, v0, v5, offset:52              // permute edge values
s_waitcnt 0                                        // wait for swizzle operation
v_accvgpr_write_b32 acc4, v5                       // 
v_accvgpr_read_b32 v5, acc5                        // glvw 3 mb 0 tt1 5 r 0
s_nop 1                                            // v_accvgpr read vgpr after write vgpr: 2 wait states
ds_bpermute_b32 v5, v0, v5, offset:52              // permute edge values
s_waitcnt 0                                        // wait for swizzle operation
v_accvgpr_write_b32 acc5, v5                       // 
v_accvgpr_read_b32 v5, acc6                        // glvw 3 mb 0 tt1 6 r 0
s_nop 1                                            // v_accvgpr read vgpr after write vgpr: 2 wait states
ds_bpermute_b32 v5, v0, v5, offset:52              // permute edge values
s_waitcnt 0                                        // wait for swizzle operation
v_accvgpr_write_b32 acc6, v5                       // 
v_accvgpr_read_b32 v5, acc7                        // glvw 3 mb 0 tt1 7 r 0
s_nop 1                                            // v_accvgpr read vgpr after write vgpr: 2 wait states
ds_bpermute_b32 v5, v0, v5, offset:52              // permute edge values
s_waitcnt 0                                        // wait for swizzle operation
v_accvgpr_write_b32 acc7, v5                       // 
v_accvgpr_read_b32 v5, acc8                        // glvw 3 mb 0 tt1 8 r 0
s_nop 1                                            // v_accvgpr read vgpr after write vgpr: 2 wait states
ds_bpermute_b32 v5, v0, v5, offset:52              // permute edge values
s_waitcnt 0                                        // wait for swizzle operation
v_accvgpr_write_b32 acc8, v5                       // 
v_accvgpr_read_b32 v5, acc9                        // glvw 3 mb 0 tt1 9 r 0
s_nop 1                                            // v_accvgpr read vgpr after write vgpr: 2 wait states
ds_bpermute_b32 v5, v0, v5, offset:52              // permute edge values
s_waitcnt 0                                        // wait for swizzle operation
v_accvgpr_write_b32 acc9, v5                       // 
v_accvgpr_read_b32 v5, acc10                       // glvw 3 mb 0 tt1 10 r 0
s_nop 1                                            // v_accvgpr read vgpr after write vgpr: 2 wait states
ds_bpermute_b32 v5, v0, v5, offset:52              // permute edge values
s_waitcnt 0                                        // wait for swizzle operation
v_accvgpr_write_b32 acc10, v5                      // 
v_accvgpr_read_b32 v5, acc11                       // glvw 3 mb 0 tt1 11 r 0
s_nop 1                                            // v_accvgpr read vgpr after write vgpr: 2 wait states
ds_bpermute_b32 v5, v0, v5, offset:52              // permute edge values
s_waitcnt 0                                        // wait for swizzle operation
v_accvgpr_write_b32 acc11, v5                      // 
s_mov_b64 s[32:33], 0xFFFFFFFFFFFFFFFF             // to restore all threads active
s_or_saveexec_b64 vcc, s[32:33]                    // all threads active
s_branch label_0246                                // done shifting


/******************************************/
/* shift d1 r=3 mb=1 vw0                  */
/******************************************/
label_0159: // r3 mb1 vw0 
s_mov_b32 s32, 2                                   // 
_v_cmpx_eq_u32 s[32:33], v4, s32                   // is thread in edge glvw region
v_and_b32 v0, 63, v[vgprSerial]                    // permute register between threads
v_lshlrev_b32 v0, 2, v0                            // permute register between threads
v_accvgpr_read_b32 v5, acc12                       // glvw 3 mb 1 tt1 0 r 0
s_nop 1                                            // v_accvgpr read vgpr after write vgpr: 2 wait states
ds_bpermute_b32 v5, v0, v5, offset:52              // permute edge values
s_waitcnt 0                                        // wait for swizzle operation
v_accvgpr_write_b32 acc12, v5                      // 
v_accvgpr_read_b32 v5, acc13                       // glvw 3 mb 1 tt1 1 r 0
s_nop 1                                            // v_accvgpr read vgpr after write vgpr: 2 wait states
ds_bpermute_b32 v5, v0, v5, offset:52              // permute edge values
s_waitcnt 0                                        // wait for swizzle operation
v_accvgpr_write_b32 acc13, v5                      // 
v_accvgpr_read_b32 v5, acc14                       // glvw 3 mb 1 tt1 2 r 0
s_nop 1                                            // v_accvgpr read vgpr after write vgpr: 2 wait states
ds_bpermute_b32 v5, v0, v5, offset:52              // permute edge values
s_waitcnt 0                                        // wait for swizzle operation
v_accvgpr_write_b32 acc14, v5                      // 
v_accvgpr_read_b32 v5, acc15                       // glvw 3 mb 1 tt1 3 r 0
s_nop 1                                            // v_accvgpr read vgpr after write vgpr: 2 wait states
ds_bpermute_b32 v5, v0, v5, offset:52              // permute edge values
s_waitcnt 0                                        // wait for swizzle operation
v_accvgpr_write_b32 acc15, v5                      // 
v_accvgpr_read_b32 v5, acc16                       // glvw 3 mb 1 tt1 4 r 0
s_nop 1                                            // v_accvgpr read vgpr after write vgpr: 2 wait states
ds_bpermute_b32 v5, v0, v5, offset:52              // permute edge values
s_waitcnt 0                                        // wait for swizzle operation
v_accvgpr_write_b32 acc16, v5                      // 
v_accvgpr_read_b32 v5, acc17                       // glvw 3 mb 1 tt1 5 r 0
s_nop 1                                            // v_accvgpr read vgpr after write vgpr: 2 wait states
ds_bpermute_b32 v5, v0, v5, offset:52              // permute edge values
s_waitcnt 0                                        // wait for swizzle operation
v_accvgpr_write_b32 acc17, v5                      // 
v_accvgpr_read_b32 v5, acc18                       // glvw 3 mb 1 tt1 6 r 0
s_nop 1                                            // v_accvgpr read vgpr after write vgpr: 2 wait states
ds_bpermute_b32 v5, v0, v5, offset:52              // permute edge values
s_waitcnt 0                                        // wait for swizzle operation
v_accvgpr_write_b32 acc18, v5                      // 
v_accvgpr_read_b32 v5, acc19                       // glvw 3 mb 1 tt1 7 r 0
s_nop 1                                            // v_accvgpr read vgpr after write vgpr: 2 wait states
ds_bpermute_b32 v5, v0, v5, offset:52              // permute edge values
s_waitcnt 0                                        // wait for swizzle operation
v_accvgpr_write_b32 acc19, v5                      // 
v_accvgpr_read_b32 v5, acc20                       // glvw 3 mb 1 tt1 8 r 0
s_nop 1                                            // v_accvgpr read vgpr after write vgpr: 2 wait states
ds_bpermute_b32 v5, v0, v5, offset:52              // permute edge values
s_waitcnt 0                                        // wait for swizzle operation
v_accvgpr_write_b32 acc20, v5                      // 
v_accvgpr_read_b32 v5, acc21                       // glvw 3 mb 1 tt1 9 r 0
s_nop 1                                            // v_accvgpr read vgpr after write vgpr: 2 wait states
ds_bpermute_b32 v5, v0, v5, offset:52              // permute edge values
s_waitcnt 0                                        // wait for swizzle operation
v_accvgpr_write_b32 acc21, v5                      // 
v_accvgpr_read_b32 v5, acc22                       // glvw 3 mb 1 tt1 10 r 0
s_nop 1                                            // v_accvgpr read vgpr after write vgpr: 2 wait states
ds_bpermute_b32 v5, v0, v5, offset:52              // permute edge values
s_waitcnt 0                                        // wait for swizzle operation
v_accvgpr_write_b32 acc22, v5                      // 
v_accvgpr_read_b32 v5, acc23                       // glvw 3 mb 1 tt1 11 r 0
s_nop 1                                            // v_accvgpr read vgpr after write vgpr: 2 wait states
ds_bpermute_b32 v5, v0, v5, offset:52              // permute edge values
s_waitcnt 0                                        // wait for swizzle operation
v_accvgpr_write_b32 acc23, v5                      // 
s_mov_b64 s[32:33], 0xFFFFFFFFFFFFFFFF             // to restore all threads active
s_or_saveexec_b64 vcc, s[32:33]                    // all threads active
s_branch label_0246                                // done shifting


/******************************************/
/* shift d1 r=3 mb=2 vw0                  */
/******************************************/
label_0161: // r3 mb2 vw0 
s_mov_b32 s32, 4                                   // 
_v_cmpx_eq_u32 s[32:33], v4, s32                   // is thread in edge glvw region
v_and_b32 v0, 63, v[vgprSerial]                    // permute register between threads
v_lshlrev_b32 v0, 2, v0                            // permute register between threads
v_accvgpr_read_b32 v5, acc24                       // glvw 3 mb 2 tt1 0 r 0
s_nop 1                                            // v_accvgpr read vgpr after write vgpr: 2 wait states
ds_bpermute_b32 v5, v0, v5, offset:52              // permute edge values
s_waitcnt 0                                        // wait for swizzle operation
v_accvgpr_write_b32 acc24, v5                      // 
v_accvgpr_read_b32 v5, acc25                       // glvw 3 mb 2 tt1 1 r 0
s_nop 1                                            // v_accvgpr read vgpr after write vgpr: 2 wait states
ds_bpermute_b32 v5, v0, v5, offset:52              // permute edge values
s_waitcnt 0                                        // wait for swizzle operation
v_accvgpr_write_b32 acc25, v5                      // 
v_accvgpr_read_b32 v5, acc26                       // glvw 3 mb 2 tt1 2 r 0
s_nop 1                                            // v_accvgpr read vgpr after write vgpr: 2 wait states
ds_bpermute_b32 v5, v0, v5, offset:52              // permute edge values
s_waitcnt 0                                        // wait for swizzle operation
v_accvgpr_write_b32 acc26, v5                      // 
v_accvgpr_read_b32 v5, acc27                       // glvw 3 mb 2 tt1 3 r 0
s_nop 1                                            // v_accvgpr read vgpr after write vgpr: 2 wait states
ds_bpermute_b32 v5, v0, v5, offset:52              // permute edge values
s_waitcnt 0                                        // wait for swizzle operation
v_accvgpr_write_b32 acc27, v5                      // 
v_accvgpr_read_b32 v5, acc28                       // glvw 3 mb 2 tt1 4 r 0
s_nop 1                                            // v_accvgpr read vgpr after write vgpr: 2 wait states
ds_bpermute_b32 v5, v0, v5, offset:52              // permute edge values
s_waitcnt 0                                        // wait for swizzle operation
v_accvgpr_write_b32 acc28, v5                      // 
v_accvgpr_read_b32 v5, acc29                       // glvw 3 mb 2 tt1 5 r 0
s_nop 1                                            // v_accvgpr read vgpr after write vgpr: 2 wait states
ds_bpermute_b32 v5, v0, v5, offset:52              // permute edge values
s_waitcnt 0                                        // wait for swizzle operation
v_accvgpr_write_b32 acc29, v5                      // 
v_accvgpr_read_b32 v5, acc30                       // glvw 3 mb 2 tt1 6 r 0
s_nop 1                                            // v_accvgpr read vgpr after write vgpr: 2 wait states
ds_bpermute_b32 v5, v0, v5, offset:52              // permute edge values
s_waitcnt 0                                        // wait for swizzle operation
v_accvgpr_write_b32 acc30, v5                      // 
v_accvgpr_read_b32 v5, acc31                       // glvw 3 mb 2 tt1 7 r 0
s_nop 1                                            // v_accvgpr read vgpr after write vgpr: 2 wait states
ds_bpermute_b32 v5, v0, v5, offset:52              // permute edge values
s_waitcnt 0                                        // wait for swizzle operation
v_accvgpr_write_b32 acc31, v5                      // 
v_accvgpr_read_b32 v5, acc32                       // glvw 3 mb 2 tt1 8 r 0
s_nop 1                                            // v_accvgpr read vgpr after write vgpr: 2 wait states
ds_bpermute_b32 v5, v0, v5, offset:52              // permute edge values
s_waitcnt 0                                        // wait for swizzle operation
v_accvgpr_write_b32 acc32, v5                      // 
v_accvgpr_read_b32 v5, acc33                       // glvw 3 mb 2 tt1 9 r 0
s_nop 1                                            // v_accvgpr read vgpr after write vgpr: 2 wait states
ds_bpermute_b32 v5, v0, v5, offset:52              // permute edge values
s_waitcnt 0                                        // wait for swizzle operation
v_accvgpr_write_b32 acc33, v5                      // 
v_accvgpr_read_b32 v5, acc34                       // glvw 3 mb 2 tt1 10 r 0
s_nop 1                                            // v_accvgpr read vgpr after write vgpr: 2 wait states
ds_bpermute_b32 v5, v0, v5, offset:52              // permute edge values
s_waitcnt 0                                        // wait for swizzle operation
v_accvgpr_write_b32 acc34, v5                      // 
v_accvgpr_read_b32 v5, acc35                       // glvw 3 mb 2 tt1 11 r 0
s_nop 1                                            // v_accvgpr read vgpr after write vgpr: 2 wait states
ds_bpermute_b32 v5, v0, v5, offset:52              // permute edge values
s_waitcnt 0                                        // wait for swizzle operation
v_accvgpr_write_b32 acc35, v5                      // 
s_mov_b64 s[32:33], 0xFFFFFFFFFFFFFFFF             // to restore all threads active
s_or_saveexec_b64 vcc, s[32:33]                    // all threads active
s_branch label_0246                                // done shifting


/******************************************/
/* shift d1 r=4 mb=0 vw0                  */
/******************************************/
label_0164: // r4 mb0 vw0 
s_mov_b32 s32, 0                                   // 
_v_cmpx_eq_u32 s[32:33], v4, s32                   // is thread in edge glvw region
v_and_b32 v0, 63, v[vgprSerial]                    // permute register between threads
v_lshlrev_b32 v0, 2, v0                            // permute register between threads
v_accvgpr_read_b32 v5, acc0                        // glvw 4 mb 0 tt1 0 r 0
s_nop 1                                            // v_accvgpr read vgpr after write vgpr: 2 wait states
ds_bpermute_b32 v5, v0, v5, offset:48              // permute edge values
s_waitcnt 0                                        // wait for swizzle operation
v_accvgpr_write_b32 acc0, v5                       // 
v_accvgpr_read_b32 v5, acc1                        // glvw 4 mb 0 tt1 1 r 0
s_nop 1                                            // v_accvgpr read vgpr after write vgpr: 2 wait states
ds_bpermute_b32 v5, v0, v5, offset:48              // permute edge values
s_waitcnt 0                                        // wait for swizzle operation
v_accvgpr_write_b32 acc1, v5                       // 
v_accvgpr_read_b32 v5, acc2                        // glvw 4 mb 0 tt1 2 r 0
s_nop 1                                            // v_accvgpr read vgpr after write vgpr: 2 wait states
ds_bpermute_b32 v5, v0, v5, offset:48              // permute edge values
s_waitcnt 0                                        // wait for swizzle operation
v_accvgpr_write_b32 acc2, v5                       // 
v_accvgpr_read_b32 v5, acc3                        // glvw 4 mb 0 tt1 3 r 0
s_nop 1                                            // v_accvgpr read vgpr after write vgpr: 2 wait states
ds_bpermute_b32 v5, v0, v5, offset:48              // permute edge values
s_waitcnt 0                                        // wait for swizzle operation
v_accvgpr_write_b32 acc3, v5                       // 
v_accvgpr_read_b32 v5, acc4                        // glvw 4 mb 0 tt1 4 r 0
s_nop 1                                            // v_accvgpr read vgpr after write vgpr: 2 wait states
ds_bpermute_b32 v5, v0, v5, offset:48              // permute edge values
s_waitcnt 0                                        // wait for swizzle operation
v_accvgpr_write_b32 acc4, v5                       // 
v_accvgpr_read_b32 v5, acc5                        // glvw 4 mb 0 tt1 5 r 0
s_nop 1                                            // v_accvgpr read vgpr after write vgpr: 2 wait states
ds_bpermute_b32 v5, v0, v5, offset:48              // permute edge values
s_waitcnt 0                                        // wait for swizzle operation
v_accvgpr_write_b32 acc5, v5                       // 
v_accvgpr_read_b32 v5, acc6                        // glvw 4 mb 0 tt1 6 r 0
s_nop 1                                            // v_accvgpr read vgpr after write vgpr: 2 wait states
ds_bpermute_b32 v5, v0, v5, offset:48              // permute edge values
s_waitcnt 0                                        // wait for swizzle operation
v_accvgpr_write_b32 acc6, v5                       // 
v_accvgpr_read_b32 v5, acc7                        // glvw 4 mb 0 tt1 7 r 0
s_nop 1                                            // v_accvgpr read vgpr after write vgpr: 2 wait states
ds_bpermute_b32 v5, v0, v5, offset:48              // permute edge values
s_waitcnt 0                                        // wait for swizzle operation
v_accvgpr_write_b32 acc7, v5                       // 
v_accvgpr_read_b32 v5, acc8                        // glvw 4 mb 0 tt1 8 r 0
s_nop 1                                            // v_accvgpr read vgpr after write vgpr: 2 wait states
ds_bpermute_b32 v5, v0, v5, offset:48              // permute edge values
s_waitcnt 0                                        // wait for swizzle operation
v_accvgpr_write_b32 acc8, v5                       // 
v_accvgpr_read_b32 v5, acc9                        // glvw 4 mb 0 tt1 9 r 0
s_nop 1                                            // v_accvgpr read vgpr after write vgpr: 2 wait states
ds_bpermute_b32 v5, v0, v5, offset:48              // permute edge values
s_waitcnt 0                                        // wait for swizzle operation
v_accvgpr_write_b32 acc9, v5                       // 
v_accvgpr_read_b32 v5, acc10                       // glvw 4 mb 0 tt1 10 r 0
s_nop 1                                            // v_accvgpr read vgpr after write vgpr: 2 wait states
ds_bpermute_b32 v5, v0, v5, offset:48              // permute edge values
s_waitcnt 0                                        // wait for swizzle operation
v_accvgpr_write_b32 acc10, v5                      // 
v_accvgpr_read_b32 v5, acc11                       // glvw 4 mb 0 tt1 11 r 0
s_nop 1                                            // v_accvgpr read vgpr after write vgpr: 2 wait states
ds_bpermute_b32 v5, v0, v5, offset:48              // permute edge values
s_waitcnt 0                                        // wait for swizzle operation
v_accvgpr_write_b32 acc11, v5                      // 
s_mov_b64 s[32:33], 0xFFFFFFFFFFFFFFFF             // to restore all threads active
s_or_saveexec_b64 vcc, s[32:33]                    // all threads active
s_branch label_0246                                // done shifting


/******************************************/
/* shift d1 r=4 mb=1 vw0                  */
/******************************************/
label_0166: // r4 mb1 vw0 
s_mov_b32 s32, 2                                   // 
_v_cmpx_eq_u32 s[32:33], v4, s32                   // is thread in edge glvw region
v_and_b32 v0, 63, v[vgprSerial]                    // permute register between threads
v_lshlrev_b32 v0, 2, v0                            // permute register between threads
v_accvgpr_read_b32 v5, acc12                       // glvw 4 mb 1 tt1 0 r 0
s_nop 1                                            // v_accvgpr read vgpr after write vgpr: 2 wait states
ds_bpermute_b32 v5, v0, v5, offset:48              // permute edge values
s_waitcnt 0                                        // wait for swizzle operation
v_accvgpr_write_b32 acc12, v5                      // 
v_accvgpr_read_b32 v5, acc13                       // glvw 4 mb 1 tt1 1 r 0
s_nop 1                                            // v_accvgpr read vgpr after write vgpr: 2 wait states
ds_bpermute_b32 v5, v0, v5, offset:48              // permute edge values
s_waitcnt 0                                        // wait for swizzle operation
v_accvgpr_write_b32 acc13, v5                      // 
v_accvgpr_read_b32 v5, acc14                       // glvw 4 mb 1 tt1 2 r 0
s_nop 1                                            // v_accvgpr read vgpr after write vgpr: 2 wait states
ds_bpermute_b32 v5, v0, v5, offset:48              // permute edge values
s_waitcnt 0                                        // wait for swizzle operation
v_accvgpr_write_b32 acc14, v5                      // 
v_accvgpr_read_b32 v5, acc15                       // glvw 4 mb 1 tt1 3 r 0
s_nop 1                                            // v_accvgpr read vgpr after write vgpr: 2 wait states
ds_bpermute_b32 v5, v0, v5, offset:48              // permute edge values
s_waitcnt 0                                        // wait for swizzle operation
v_accvgpr_write_b32 acc15, v5                      // 
v_accvgpr_read_b32 v5, acc16                       // glvw 4 mb 1 tt1 4 r 0
s_nop 1                                            // v_accvgpr read vgpr after write vgpr: 2 wait states
ds_bpermute_b32 v5, v0, v5, offset:48              // permute edge values
s_waitcnt 0                                        // wait for swizzle operation
v_accvgpr_write_b32 acc16, v5                      // 
v_accvgpr_read_b32 v5, acc17                       // glvw 4 mb 1 tt1 5 r 0
s_nop 1                                            // v_accvgpr read vgpr after write vgpr: 2 wait states
ds_bpermute_b32 v5, v0, v5, offset:48              // permute edge values
s_waitcnt 0                                        // wait for swizzle operation
v_accvgpr_write_b32 acc17, v5                      // 
v_accvgpr_read_b32 v5, acc18                       // glvw 4 mb 1 tt1 6 r 0
s_nop 1                                            // v_accvgpr read vgpr after write vgpr: 2 wait states
ds_bpermute_b32 v5, v0, v5, offset:48              // permute edge values
s_waitcnt 0                                        // wait for swizzle operation
v_accvgpr_write_b32 acc18, v5                      // 
v_accvgpr_read_b32 v5, acc19                       // glvw 4 mb 1 tt1 7 r 0
s_nop 1                                            // v_accvgpr read vgpr after write vgpr: 2 wait states
ds_bpermute_b32 v5, v0, v5, offset:48              // permute edge values
s_waitcnt 0                                        // wait for swizzle operation
v_accvgpr_write_b32 acc19, v5                      // 
v_accvgpr_read_b32 v5, acc20                       // glvw 4 mb 1 tt1 8 r 0
s_nop 1                                            // v_accvgpr read vgpr after write vgpr: 2 wait states
ds_bpermute_b32 v5, v0, v5, offset:48              // permute edge values
s_waitcnt 0                                        // wait for swizzle operation
v_accvgpr_write_b32 acc20, v5                      // 
v_accvgpr_read_b32 v5, acc21                       // glvw 4 mb 1 tt1 9 r 0
s_nop 1                                            // v_accvgpr read vgpr after write vgpr: 2 wait states
ds_bpermute_b32 v5, v0, v5, offset:48              // permute edge values
s_waitcnt 0                                        // wait for swizzle operation
v_accvgpr_write_b32 acc21, v5                      // 
v_accvgpr_read_b32 v5, acc22                       // glvw 4 mb 1 tt1 10 r 0
s_nop 1                                            // v_accvgpr read vgpr after write vgpr: 2 wait states
ds_bpermute_b32 v5, v0, v5, offset:48              // permute edge values
s_waitcnt 0                                        // wait for swizzle operation
v_accvgpr_write_b32 acc22, v5                      // 
v_accvgpr_read_b32 v5, acc23                       // glvw 4 mb 1 tt1 11 r 0
s_nop 1                                            // v_accvgpr read vgpr after write vgpr: 2 wait states
ds_bpermute_b32 v5, v0, v5, offset:48              // permute edge values
s_waitcnt 0                                        // wait for swizzle operation
v_accvgpr_write_b32 acc23, v5                      // 
s_mov_b64 s[32:33], 0xFFFFFFFFFFFFFFFF             // to restore all threads active
s_or_saveexec_b64 vcc, s[32:33]                    // all threads active
s_branch label_0246                                // done shifting


/******************************************/
/* shift d1 r=4 mb=2 vw0                  */
/******************************************/
label_0168: // r4 mb2 vw0 
s_mov_b32 s32, 4                                   // 
_v_cmpx_eq_u32 s[32:33], v4, s32                   // is thread in edge glvw region
v_and_b32 v0, 63, v[vgprSerial]                    // permute register between threads
v_lshlrev_b32 v0, 2, v0                            // permute register between threads
v_accvgpr_read_b32 v5, acc24                       // glvw 4 mb 2 tt1 0 r 0
s_nop 1                                            // v_accvgpr read vgpr after write vgpr: 2 wait states
ds_bpermute_b32 v5, v0, v5, offset:48              // permute edge values
s_waitcnt 0                                        // wait for swizzle operation
v_accvgpr_write_b32 acc24, v5                      // 
v_accvgpr_read_b32 v5, acc25                       // glvw 4 mb 2 tt1 1 r 0
s_nop 1                                            // v_accvgpr read vgpr after write vgpr: 2 wait states
ds_bpermute_b32 v5, v0, v5, offset:48              // permute edge values
s_waitcnt 0                                        // wait for swizzle operation
v_accvgpr_write_b32 acc25, v5                      // 
v_accvgpr_read_b32 v5, acc26                       // glvw 4 mb 2 tt1 2 r 0
s_nop 1                                            // v_accvgpr read vgpr after write vgpr: 2 wait states
ds_bpermute_b32 v5, v0, v5, offset:48              // permute edge values
s_waitcnt 0                                        // wait for swizzle operation
v_accvgpr_write_b32 acc26, v5                      // 
v_accvgpr_read_b32 v5, acc27                       // glvw 4 mb 2 tt1 3 r 0
s_nop 1                                            // v_accvgpr read vgpr after write vgpr: 2 wait states
ds_bpermute_b32 v5, v0, v5, offset:48              // permute edge values
s_waitcnt 0                                        // wait for swizzle operation
v_accvgpr_write_b32 acc27, v5                      // 
v_accvgpr_read_b32 v5, acc28                       // glvw 4 mb 2 tt1 4 r 0
s_nop 1                                            // v_accvgpr read vgpr after write vgpr: 2 wait states
ds_bpermute_b32 v5, v0, v5, offset:48              // permute edge values
s_waitcnt 0                                        // wait for swizzle operation
v_accvgpr_write_b32 acc28, v5                      // 
v_accvgpr_read_b32 v5, acc29                       // glvw 4 mb 2 tt1 5 r 0
s_nop 1                                            // v_accvgpr read vgpr after write vgpr: 2 wait states
ds_bpermute_b32 v5, v0, v5, offset:48              // permute edge values
s_waitcnt 0                                        // wait for swizzle operation
v_accvgpr_write_b32 acc29, v5                      // 
v_accvgpr_read_b32 v5, acc30                       // glvw 4 mb 2 tt1 6 r 0
s_nop 1                                            // v_accvgpr read vgpr after write vgpr: 2 wait states
ds_bpermute_b32 v5, v0, v5, offset:48              // permute edge values
s_waitcnt 0                                        // wait for swizzle operation
v_accvgpr_write_b32 acc30, v5                      // 
v_accvgpr_read_b32 v5, acc31                       // glvw 4 mb 2 tt1 7 r 0
s_nop 1                                            // v_accvgpr read vgpr after write vgpr: 2 wait states
ds_bpermute_b32 v5, v0, v5, offset:48              // permute edge values
s_waitcnt 0                                        // wait for swizzle operation
v_accvgpr_write_b32 acc31, v5                      // 
v_accvgpr_read_b32 v5, acc32                       // glvw 4 mb 2 tt1 8 r 0
s_nop 1                                            // v_accvgpr read vgpr after write vgpr: 2 wait states
ds_bpermute_b32 v5, v0, v5, offset:48              // permute edge values
s_waitcnt 0                                        // wait for swizzle operation
v_accvgpr_write_b32 acc32, v5                      // 
v_accvgpr_read_b32 v5, acc33                       // glvw 4 mb 2 tt1 9 r 0
s_nop 1                                            // v_accvgpr read vgpr after write vgpr: 2 wait states
ds_bpermute_b32 v5, v0, v5, offset:48              // permute edge values
s_waitcnt 0                                        // wait for swizzle operation
v_accvgpr_write_b32 acc33, v5                      // 
v_accvgpr_read_b32 v5, acc34                       // glvw 4 mb 2 tt1 10 r 0
s_nop 1                                            // v_accvgpr read vgpr after write vgpr: 2 wait states
ds_bpermute_b32 v5, v0, v5, offset:48              // permute edge values
s_waitcnt 0                                        // wait for swizzle operation
v_accvgpr_write_b32 acc34, v5                      // 
v_accvgpr_read_b32 v5, acc35                       // glvw 4 mb 2 tt1 11 r 0
s_nop 1                                            // v_accvgpr read vgpr after write vgpr: 2 wait states
ds_bpermute_b32 v5, v0, v5, offset:48              // permute edge values
s_waitcnt 0                                        // wait for swizzle operation
v_accvgpr_write_b32 acc35, v5                      // 
s_mov_b64 s[32:33], 0xFFFFFFFFFFFFFFFF             // to restore all threads active
s_or_saveexec_b64 vcc, s[32:33]                    // all threads active
s_branch label_0246                                // done shifting


/******************************************/
/* shift d1 r=5 mb=0 vw0                  */
/******************************************/
label_0171: // r5 mb0 vw0 
s_mov_b32 s32, 0                                   // 
_v_cmpx_eq_u32 s[32:33], v4, s32                   // is thread in edge glvw region
v_and_b32 v0, 63, v[vgprSerial]                    // permute register between threads
v_lshlrev_b32 v0, 2, v0                            // permute register between threads
v_accvgpr_read_b32 v5, acc0                        // glvw 5 mb 0 tt1 0 r 0
s_nop 1                                            // v_accvgpr read vgpr after write vgpr: 2 wait states
ds_bpermute_b32 v5, v0, v5, offset:44              // permute edge values
s_waitcnt 0                                        // wait for swizzle operation
v_accvgpr_write_b32 acc0, v5                       // 
v_accvgpr_read_b32 v5, acc1                        // glvw 5 mb 0 tt1 1 r 0
s_nop 1                                            // v_accvgpr read vgpr after write vgpr: 2 wait states
ds_bpermute_b32 v5, v0, v5, offset:44              // permute edge values
s_waitcnt 0                                        // wait for swizzle operation
v_accvgpr_write_b32 acc1, v5                       // 
v_accvgpr_read_b32 v5, acc2                        // glvw 5 mb 0 tt1 2 r 0
s_nop 1                                            // v_accvgpr read vgpr after write vgpr: 2 wait states
ds_bpermute_b32 v5, v0, v5, offset:44              // permute edge values
s_waitcnt 0                                        // wait for swizzle operation
v_accvgpr_write_b32 acc2, v5                       // 
v_accvgpr_read_b32 v5, acc3                        // glvw 5 mb 0 tt1 3 r 0
s_nop 1                                            // v_accvgpr read vgpr after write vgpr: 2 wait states
ds_bpermute_b32 v5, v0, v5, offset:44              // permute edge values
s_waitcnt 0                                        // wait for swizzle operation
v_accvgpr_write_b32 acc3, v5                       // 
v_accvgpr_read_b32 v5, acc4                        // glvw 5 mb 0 tt1 4 r 0
s_nop 1                                            // v_accvgpr read vgpr after write vgpr: 2 wait states
ds_bpermute_b32 v5, v0, v5, offset:44              // permute edge values
s_waitcnt 0                                        // wait for swizzle operation
v_accvgpr_write_b32 acc4, v5                       // 
v_accvgpr_read_b32 v5, acc5                        // glvw 5 mb 0 tt1 5 r 0
s_nop 1                                            // v_accvgpr read vgpr after write vgpr: 2 wait states
ds_bpermute_b32 v5, v0, v5, offset:44              // permute edge values
s_waitcnt 0                                        // wait for swizzle operation
v_accvgpr_write_b32 acc5, v5                       // 
v_accvgpr_read_b32 v5, acc6                        // glvw 5 mb 0 tt1 6 r 0
s_nop 1                                            // v_accvgpr read vgpr after write vgpr: 2 wait states
ds_bpermute_b32 v5, v0, v5, offset:44              // permute edge values
s_waitcnt 0                                        // wait for swizzle operation
v_accvgpr_write_b32 acc6, v5                       // 
v_accvgpr_read_b32 v5, acc7                        // glvw 5 mb 0 tt1 7 r 0
s_nop 1                                            // v_accvgpr read vgpr after write vgpr: 2 wait states
ds_bpermute_b32 v5, v0, v5, offset:44              // permute edge values
s_waitcnt 0                                        // wait for swizzle operation
v_accvgpr_write_b32 acc7, v5                       // 
v_accvgpr_read_b32 v5, acc8                        // glvw 5 mb 0 tt1 8 r 0
s_nop 1                                            // v_accvgpr read vgpr after write vgpr: 2 wait states
ds_bpermute_b32 v5, v0, v5, offset:44              // permute edge values
s_waitcnt 0                                        // wait for swizzle operation
v_accvgpr_write_b32 acc8, v5                       // 
v_accvgpr_read_b32 v5, acc9                        // glvw 5 mb 0 tt1 9 r 0
s_nop 1                                            // v_accvgpr read vgpr after write vgpr: 2 wait states
ds_bpermute_b32 v5, v0, v5, offset:44              // permute edge values
s_waitcnt 0                                        // wait for swizzle operation
v_accvgpr_write_b32 acc9, v5                       // 
v_accvgpr_read_b32 v5, acc10                       // glvw 5 mb 0 tt1 10 r 0
s_nop 1                                            // v_accvgpr read vgpr after write vgpr: 2 wait states
ds_bpermute_b32 v5, v0, v5, offset:44              // permute edge values
s_waitcnt 0                                        // wait for swizzle operation
v_accvgpr_write_b32 acc10, v5                      // 
v_accvgpr_read_b32 v5, acc11                       // glvw 5 mb 0 tt1 11 r 0
s_nop 1                                            // v_accvgpr read vgpr after write vgpr: 2 wait states
ds_bpermute_b32 v5, v0, v5, offset:44              // permute edge values
s_waitcnt 0                                        // wait for swizzle operation
v_accvgpr_write_b32 acc11, v5                      // 
s_mov_b64 s[32:33], 0xFFFFFFFFFFFFFFFF             // to restore all threads active
s_or_saveexec_b64 vcc, s[32:33]                    // all threads active
s_branch label_0246                                // done shifting


/******************************************/
/* shift d1 r=5 mb=1 vw0                  */
/******************************************/
label_0173: // r5 mb1 vw0 
s_mov_b32 s32, 2                                   // 
_v_cmpx_eq_u32 s[32:33], v4, s32                   // is thread in edge glvw region
v_and_b32 v0, 63, v[vgprSerial]                    // permute register between threads
v_lshlrev_b32 v0, 2, v0                            // permute register between threads
v_accvgpr_read_b32 v5, acc12                       // glvw 5 mb 1 tt1 0 r 0
s_nop 1                                            // v_accvgpr read vgpr after write vgpr: 2 wait states
ds_bpermute_b32 v5, v0, v5, offset:44              // permute edge values
s_waitcnt 0                                        // wait for swizzle operation
v_accvgpr_write_b32 acc12, v5                      // 
v_accvgpr_read_b32 v5, acc13                       // glvw 5 mb 1 tt1 1 r 0
s_nop 1                                            // v_accvgpr read vgpr after write vgpr: 2 wait states
ds_bpermute_b32 v5, v0, v5, offset:44              // permute edge values
s_waitcnt 0                                        // wait for swizzle operation
v_accvgpr_write_b32 acc13, v5                      // 
v_accvgpr_read_b32 v5, acc14                       // glvw 5 mb 1 tt1 2 r 0
s_nop 1                                            // v_accvgpr read vgpr after write vgpr: 2 wait states
ds_bpermute_b32 v5, v0, v5, offset:44              // permute edge values
s_waitcnt 0                                        // wait for swizzle operation
v_accvgpr_write_b32 acc14, v5                      // 
v_accvgpr_read_b32 v5, acc15                       // glvw 5 mb 1 tt1 3 r 0
s_nop 1                                            // v_accvgpr read vgpr after write vgpr: 2 wait states
ds_bpermute_b32 v5, v0, v5, offset:44              // permute edge values
s_waitcnt 0                                        // wait for swizzle operation
v_accvgpr_write_b32 acc15, v5                      // 
v_accvgpr_read_b32 v5, acc16                       // glvw 5 mb 1 tt1 4 r 0
s_nop 1                                            // v_accvgpr read vgpr after write vgpr: 2 wait states
ds_bpermute_b32 v5, v0, v5, offset:44              // permute edge values
s_waitcnt 0                                        // wait for swizzle operation
v_accvgpr_write_b32 acc16, v5                      // 
v_accvgpr_read_b32 v5, acc17                       // glvw 5 mb 1 tt1 5 r 0
s_nop 1                                            // v_accvgpr read vgpr after write vgpr: 2 wait states
ds_bpermute_b32 v5, v0, v5, offset:44              // permute edge values
s_waitcnt 0                                        // wait for swizzle operation
v_accvgpr_write_b32 acc17, v5                      // 
v_accvgpr_read_b32 v5, acc18                       // glvw 5 mb 1 tt1 6 r 0
s_nop 1                                            // v_accvgpr read vgpr after write vgpr: 2 wait states
ds_bpermute_b32 v5, v0, v5, offset:44              // permute edge values
s_waitcnt 0                                        // wait for swizzle operation
v_accvgpr_write_b32 acc18, v5                      // 
v_accvgpr_read_b32 v5, acc19                       // glvw 5 mb 1 tt1 7 r 0
s_nop 1                                            // v_accvgpr read vgpr after write vgpr: 2 wait states
ds_bpermute_b32 v5, v0, v5, offset:44              // permute edge values
s_waitcnt 0                                        // wait for swizzle operation
v_accvgpr_write_b32 acc19, v5                      // 
v_accvgpr_read_b32 v5, acc20                       // glvw 5 mb 1 tt1 8 r 0
s_nop 1                                            // v_accvgpr read vgpr after write vgpr: 2 wait states
ds_bpermute_b32 v5, v0, v5, offset:44              // permute edge values
s_waitcnt 0                                        // wait for swizzle operation
v_accvgpr_write_b32 acc20, v5                      // 
v_accvgpr_read_b32 v5, acc21                       // glvw 5 mb 1 tt1 9 r 0
s_nop 1                                            // v_accvgpr read vgpr after write vgpr: 2 wait states
ds_bpermute_b32 v5, v0, v5, offset:44              // permute edge values
s_waitcnt 0                                        // wait for swizzle operation
v_accvgpr_write_b32 acc21, v5                      // 
v_accvgpr_read_b32 v5, acc22                       // glvw 5 mb 1 tt1 10 r 0
s_nop 1                                            // v_accvgpr read vgpr after write vgpr: 2 wait states
ds_bpermute_b32 v5, v0, v5, offset:44              // permute edge values
s_waitcnt 0                                        // wait for swizzle operation
v_accvgpr_write_b32 acc22, v5                      // 
v_accvgpr_read_b32 v5, acc23                       // glvw 5 mb 1 tt1 11 r 0
s_nop 1                                            // v_accvgpr read vgpr after write vgpr: 2 wait states
ds_bpermute_b32 v5, v0, v5, offset:44              // permute edge values
s_waitcnt 0                                        // wait for swizzle operation
v_accvgpr_write_b32 acc23, v5                      // 
s_mov_b64 s[32:33], 0xFFFFFFFFFFFFFFFF             // to restore all threads active
s_or_saveexec_b64 vcc, s[32:33]                    // all threads active
s_branch label_0246                                // done shifting


/******************************************/
/* shift d1 r=5 mb=2 vw0                  */
/******************************************/
label_0175: // r5 mb2 vw0 
s_mov_b32 s32, 4                                   // 
_v_cmpx_eq_u32 s[32:33], v4, s32                   // is thread in edge glvw region
v_and_b32 v0, 63, v[vgprSerial]                    // permute register between threads
v_lshlrev_b32 v0, 2, v0                            // permute register between threads
v_accvgpr_read_b32 v5, acc24                       // glvw 5 mb 2 tt1 0 r 0
s_nop 1                                            // v_accvgpr read vgpr after write vgpr: 2 wait states
ds_bpermute_b32 v5, v0, v5, offset:44              // permute edge values
s_waitcnt 0                                        // wait for swizzle operation
v_accvgpr_write_b32 acc24, v5                      // 
v_accvgpr_read_b32 v5, acc25                       // glvw 5 mb 2 tt1 1 r 0
s_nop 1                                            // v_accvgpr read vgpr after write vgpr: 2 wait states
ds_bpermute_b32 v5, v0, v5, offset:44              // permute edge values
s_waitcnt 0                                        // wait for swizzle operation
v_accvgpr_write_b32 acc25, v5                      // 
v_accvgpr_read_b32 v5, acc26                       // glvw 5 mb 2 tt1 2 r 0
s_nop 1                                            // v_accvgpr read vgpr after write vgpr: 2 wait states
ds_bpermute_b32 v5, v0, v5, offset:44              // permute edge values
s_waitcnt 0                                        // wait for swizzle operation
v_accvgpr_write_b32 acc26, v5                      // 
v_accvgpr_read_b32 v5, acc27                       // glvw 5 mb 2 tt1 3 r 0
s_nop 1                                            // v_accvgpr read vgpr after write vgpr: 2 wait states
ds_bpermute_b32 v5, v0, v5, offset:44              // permute edge values
s_waitcnt 0                                        // wait for swizzle operation
v_accvgpr_write_b32 acc27, v5                      // 
v_accvgpr_read_b32 v5, acc28                       // glvw 5 mb 2 tt1 4 r 0
s_nop 1                                            // v_accvgpr read vgpr after write vgpr: 2 wait states
ds_bpermute_b32 v5, v0, v5, offset:44              // permute edge values
s_waitcnt 0                                        // wait for swizzle operation
v_accvgpr_write_b32 acc28, v5                      // 
v_accvgpr_read_b32 v5, acc29                       // glvw 5 mb 2 tt1 5 r 0
s_nop 1                                            // v_accvgpr read vgpr after write vgpr: 2 wait states
ds_bpermute_b32 v5, v0, v5, offset:44              // permute edge values
s_waitcnt 0                                        // wait for swizzle operation
v_accvgpr_write_b32 acc29, v5                      // 
v_accvgpr_read_b32 v5, acc30                       // glvw 5 mb 2 tt1 6 r 0
s_nop 1                                            // v_accvgpr read vgpr after write vgpr: 2 wait states
ds_bpermute_b32 v5, v0, v5, offset:44              // permute edge values
s_waitcnt 0                                        // wait for swizzle operation
v_accvgpr_write_b32 acc30, v5                      // 
v_accvgpr_read_b32 v5, acc31                       // glvw 5 mb 2 tt1 7 r 0
s_nop 1                                            // v_accvgpr read vgpr after write vgpr: 2 wait states
ds_bpermute_b32 v5, v0, v5, offset:44              // permute edge values
s_waitcnt 0                                        // wait for swizzle operation
v_accvgpr_write_b32 acc31, v5                      // 
v_accvgpr_read_b32 v5, acc32                       // glvw 5 mb 2 tt1 8 r 0
s_nop 1                                            // v_accvgpr read vgpr after write vgpr: 2 wait states
ds_bpermute_b32 v5, v0, v5, offset:44              // permute edge values
s_waitcnt 0                                        // wait for swizzle operation
v_accvgpr_write_b32 acc32, v5                      // 
v_accvgpr_read_b32 v5, acc33                       // glvw 5 mb 2 tt1 9 r 0
s_nop 1                                            // v_accvgpr read vgpr after write vgpr: 2 wait states
ds_bpermute_b32 v5, v0, v5, offset:44              // permute edge values
s_waitcnt 0                                        // wait for swizzle operation
v_accvgpr_write_b32 acc33, v5                      // 
v_accvgpr_read_b32 v5, acc34                       // glvw 5 mb 2 tt1 10 r 0
s_nop 1                                            // v_accvgpr read vgpr after write vgpr: 2 wait states
ds_bpermute_b32 v5, v0, v5, offset:44              // permute edge values
s_waitcnt 0                                        // wait for swizzle operation
v_accvgpr_write_b32 acc34, v5                      // 
v_accvgpr_read_b32 v5, acc35                       // glvw 5 mb 2 tt1 11 r 0
s_nop 1                                            // v_accvgpr read vgpr after write vgpr: 2 wait states
ds_bpermute_b32 v5, v0, v5, offset:44              // permute edge values
s_waitcnt 0                                        // wait for swizzle operation
v_accvgpr_write_b32 acc35, v5                      // 
s_mov_b64 s[32:33], 0xFFFFFFFFFFFFFFFF             // to restore all threads active
s_or_saveexec_b64 vcc, s[32:33]                    // all threads active
s_branch label_0246                                // done shifting


/******************************************/
/* shift d1 r=6 mb=0 vw0                  */
/******************************************/
label_0178: // r6 mb0 vw0 
s_mov_b32 s32, 0                                   // 
_v_cmpx_eq_u32 s[32:33], v4, s32                   // is thread in edge glvw region
v_and_b32 v0, 63, v[vgprSerial]                    // permute register between threads
v_lshlrev_b32 v0, 2, v0                            // permute register between threads
v_accvgpr_read_b32 v5, acc0                        // glvw 6 mb 0 tt1 0 r 0
s_nop 1                                            // v_accvgpr read vgpr after write vgpr: 2 wait states
ds_bpermute_b32 v5, v0, v5, offset:40              // permute edge values
s_waitcnt 0                                        // wait for swizzle operation
v_accvgpr_write_b32 acc0, v5                       // 
v_accvgpr_read_b32 v5, acc1                        // glvw 6 mb 0 tt1 1 r 0
s_nop 1                                            // v_accvgpr read vgpr after write vgpr: 2 wait states
ds_bpermute_b32 v5, v0, v5, offset:40              // permute edge values
s_waitcnt 0                                        // wait for swizzle operation
v_accvgpr_write_b32 acc1, v5                       // 
v_accvgpr_read_b32 v5, acc2                        // glvw 6 mb 0 tt1 2 r 0
s_nop 1                                            // v_accvgpr read vgpr after write vgpr: 2 wait states
ds_bpermute_b32 v5, v0, v5, offset:40              // permute edge values
s_waitcnt 0                                        // wait for swizzle operation
v_accvgpr_write_b32 acc2, v5                       // 
v_accvgpr_read_b32 v5, acc3                        // glvw 6 mb 0 tt1 3 r 0
s_nop 1                                            // v_accvgpr read vgpr after write vgpr: 2 wait states
ds_bpermute_b32 v5, v0, v5, offset:40              // permute edge values
s_waitcnt 0                                        // wait for swizzle operation
v_accvgpr_write_b32 acc3, v5                       // 
v_accvgpr_read_b32 v5, acc4                        // glvw 6 mb 0 tt1 4 r 0
s_nop 1                                            // v_accvgpr read vgpr after write vgpr: 2 wait states
ds_bpermute_b32 v5, v0, v5, offset:40              // permute edge values
s_waitcnt 0                                        // wait for swizzle operation
v_accvgpr_write_b32 acc4, v5                       // 
v_accvgpr_read_b32 v5, acc5                        // glvw 6 mb 0 tt1 5 r 0
s_nop 1                                            // v_accvgpr read vgpr after write vgpr: 2 wait states
ds_bpermute_b32 v5, v0, v5, offset:40              // permute edge values
s_waitcnt 0                                        // wait for swizzle operation
v_accvgpr_write_b32 acc5, v5                       // 
v_accvgpr_read_b32 v5, acc6                        // glvw 6 mb 0 tt1 6 r 0
s_nop 1                                            // v_accvgpr read vgpr after write vgpr: 2 wait states
ds_bpermute_b32 v5, v0, v5, offset:40              // permute edge values
s_waitcnt 0                                        // wait for swizzle operation
v_accvgpr_write_b32 acc6, v5                       // 
v_accvgpr_read_b32 v5, acc7                        // glvw 6 mb 0 tt1 7 r 0
s_nop 1                                            // v_accvgpr read vgpr after write vgpr: 2 wait states
ds_bpermute_b32 v5, v0, v5, offset:40              // permute edge values
s_waitcnt 0                                        // wait for swizzle operation
v_accvgpr_write_b32 acc7, v5                       // 
v_accvgpr_read_b32 v5, acc8                        // glvw 6 mb 0 tt1 8 r 0
s_nop 1                                            // v_accvgpr read vgpr after write vgpr: 2 wait states
ds_bpermute_b32 v5, v0, v5, offset:40              // permute edge values
s_waitcnt 0                                        // wait for swizzle operation
v_accvgpr_write_b32 acc8, v5                       // 
v_accvgpr_read_b32 v5, acc9                        // glvw 6 mb 0 tt1 9 r 0
s_nop 1                                            // v_accvgpr read vgpr after write vgpr: 2 wait states
ds_bpermute_b32 v5, v0, v5, offset:40              // permute edge values
s_waitcnt 0                                        // wait for swizzle operation
v_accvgpr_write_b32 acc9, v5                       // 
v_accvgpr_read_b32 v5, acc10                       // glvw 6 mb 0 tt1 10 r 0
s_nop 1                                            // v_accvgpr read vgpr after write vgpr: 2 wait states
ds_bpermute_b32 v5, v0, v5, offset:40              // permute edge values
s_waitcnt 0                                        // wait for swizzle operation
v_accvgpr_write_b32 acc10, v5                      // 
v_accvgpr_read_b32 v5, acc11                       // glvw 6 mb 0 tt1 11 r 0
s_nop 1                                            // v_accvgpr read vgpr after write vgpr: 2 wait states
ds_bpermute_b32 v5, v0, v5, offset:40              // permute edge values
s_waitcnt 0                                        // wait for swizzle operation
v_accvgpr_write_b32 acc11, v5                      // 
s_mov_b64 s[32:33], 0xFFFFFFFFFFFFFFFF             // to restore all threads active
s_or_saveexec_b64 vcc, s[32:33]                    // all threads active
s_branch label_0246                                // done shifting


/******************************************/
/* shift d1 r=6 mb=1 vw0                  */
/******************************************/
label_0180: // r6 mb1 vw0 
s_mov_b32 s32, 2                                   // 
_v_cmpx_eq_u32 s[32:33], v4, s32                   // is thread in edge glvw region
v_and_b32 v0, 63, v[vgprSerial]                    // permute register between threads
v_lshlrev_b32 v0, 2, v0                            // permute register between threads
v_accvgpr_read_b32 v5, acc12                       // glvw 6 mb 1 tt1 0 r 0
s_nop 1                                            // v_accvgpr read vgpr after write vgpr: 2 wait states
ds_bpermute_b32 v5, v0, v5, offset:40              // permute edge values
s_waitcnt 0                                        // wait for swizzle operation
v_accvgpr_write_b32 acc12, v5                      // 
v_accvgpr_read_b32 v5, acc13                       // glvw 6 mb 1 tt1 1 r 0
s_nop 1                                            // v_accvgpr read vgpr after write vgpr: 2 wait states
ds_bpermute_b32 v5, v0, v5, offset:40              // permute edge values
s_waitcnt 0                                        // wait for swizzle operation
v_accvgpr_write_b32 acc13, v5                      // 
v_accvgpr_read_b32 v5, acc14                       // glvw 6 mb 1 tt1 2 r 0
s_nop 1                                            // v_accvgpr read vgpr after write vgpr: 2 wait states
ds_bpermute_b32 v5, v0, v5, offset:40              // permute edge values
s_waitcnt 0                                        // wait for swizzle operation
v_accvgpr_write_b32 acc14, v5                      // 
v_accvgpr_read_b32 v5, acc15                       // glvw 6 mb 1 tt1 3 r 0
s_nop 1                                            // v_accvgpr read vgpr after write vgpr: 2 wait states
ds_bpermute_b32 v5, v0, v5, offset:40              // permute edge values
s_waitcnt 0                                        // wait for swizzle operation
v_accvgpr_write_b32 acc15, v5                      // 
v_accvgpr_read_b32 v5, acc16                       // glvw 6 mb 1 tt1 4 r 0
s_nop 1                                            // v_accvgpr read vgpr after write vgpr: 2 wait states
ds_bpermute_b32 v5, v0, v5, offset:40              // permute edge values
s_waitcnt 0                                        // wait for swizzle operation
v_accvgpr_write_b32 acc16, v5                      // 
v_accvgpr_read_b32 v5, acc17                       // glvw 6 mb 1 tt1 5 r 0
s_nop 1                                            // v_accvgpr read vgpr after write vgpr: 2 wait states
ds_bpermute_b32 v5, v0, v5, offset:40              // permute edge values
s_waitcnt 0                                        // wait for swizzle operation
v_accvgpr_write_b32 acc17, v5                      // 
v_accvgpr_read_b32 v5, acc18                       // glvw 6 mb 1 tt1 6 r 0
s_nop 1                                            // v_accvgpr read vgpr after write vgpr: 2 wait states
ds_bpermute_b32 v5, v0, v5, offset:40              // permute edge values
s_waitcnt 0                                        // wait for swizzle operation
v_accvgpr_write_b32 acc18, v5                      // 
v_accvgpr_read_b32 v5, acc19                       // glvw 6 mb 1 tt1 7 r 0
s_nop 1                                            // v_accvgpr read vgpr after write vgpr: 2 wait states
ds_bpermute_b32 v5, v0, v5, offset:40              // permute edge values
s_waitcnt 0                                        // wait for swizzle operation
v_accvgpr_write_b32 acc19, v5                      // 
v_accvgpr_read_b32 v5, acc20                       // glvw 6 mb 1 tt1 8 r 0
s_nop 1                                            // v_accvgpr read vgpr after write vgpr: 2 wait states
ds_bpermute_b32 v5, v0, v5, offset:40              // permute edge values
s_waitcnt 0                                        // wait for swizzle operation
v_accvgpr_write_b32 acc20, v5                      // 
v_accvgpr_read_b32 v5, acc21                       // glvw 6 mb 1 tt1 9 r 0
s_nop 1                                            // v_accvgpr read vgpr after write vgpr: 2 wait states
ds_bpermute_b32 v5, v0, v5, offset:40              // permute edge values
s_waitcnt 0                                        // wait for swizzle operation
v_accvgpr_write_b32 acc21, v5                      // 
v_accvgpr_read_b32 v5, acc22                       // glvw 6 mb 1 tt1 10 r 0
s_nop 1                                            // v_accvgpr read vgpr after write vgpr: 2 wait states
ds_bpermute_b32 v5, v0, v5, offset:40              // permute edge values
s_waitcnt 0                                        // wait for swizzle operation
v_accvgpr_write_b32 acc22, v5                      // 
v_accvgpr_read_b32 v5, acc23                       // glvw 6 mb 1 tt1 11 r 0
s_nop 1                                            // v_accvgpr read vgpr after write vgpr: 2 wait states
ds_bpermute_b32 v5, v0, v5, offset:40              // permute edge values
s_waitcnt 0                                        // wait for swizzle operation
v_accvgpr_write_b32 acc23, v5                      // 
s_mov_b64 s[32:33], 0xFFFFFFFFFFFFFFFF             // to restore all threads active
s_or_saveexec_b64 vcc, s[32:33]                    // all threads active
s_branch label_0246                                // done shifting


/******************************************/
/* shift d1 r=6 mb=2 vw0                  */
/******************************************/
label_0182: // r6 mb2 vw0 
s_mov_b32 s32, 4                                   // 
_v_cmpx_eq_u32 s[32:33], v4, s32                   // is thread in edge glvw region
v_and_b32 v0, 63, v[vgprSerial]                    // permute register between threads
v_lshlrev_b32 v0, 2, v0                            // permute register between threads
v_accvgpr_read_b32 v5, acc24                       // glvw 6 mb 2 tt1 0 r 0
s_nop 1                                            // v_accvgpr read vgpr after write vgpr: 2 wait states
ds_bpermute_b32 v5, v0, v5, offset:40              // permute edge values
s_waitcnt 0                                        // wait for swizzle operation
v_accvgpr_write_b32 acc24, v5                      // 
v_accvgpr_read_b32 v5, acc25                       // glvw 6 mb 2 tt1 1 r 0
s_nop 1                                            // v_accvgpr read vgpr after write vgpr: 2 wait states
ds_bpermute_b32 v5, v0, v5, offset:40              // permute edge values
s_waitcnt 0                                        // wait for swizzle operation
v_accvgpr_write_b32 acc25, v5                      // 
v_accvgpr_read_b32 v5, acc26                       // glvw 6 mb 2 tt1 2 r 0
s_nop 1                                            // v_accvgpr read vgpr after write vgpr: 2 wait states
ds_bpermute_b32 v5, v0, v5, offset:40              // permute edge values
s_waitcnt 0                                        // wait for swizzle operation
v_accvgpr_write_b32 acc26, v5                      // 
v_accvgpr_read_b32 v5, acc27                       // glvw 6 mb 2 tt1 3 r 0
s_nop 1                                            // v_accvgpr read vgpr after write vgpr: 2 wait states
ds_bpermute_b32 v5, v0, v5, offset:40              // permute edge values
s_waitcnt 0                                        // wait for swizzle operation
v_accvgpr_write_b32 acc27, v5                      // 
v_accvgpr_read_b32 v5, acc28                       // glvw 6 mb 2 tt1 4 r 0
s_nop 1                                            // v_accvgpr read vgpr after write vgpr: 2 wait states
ds_bpermute_b32 v5, v0, v5, offset:40              // permute edge values
s_waitcnt 0                                        // wait for swizzle operation
v_accvgpr_write_b32 acc28, v5                      // 
v_accvgpr_read_b32 v5, acc29                       // glvw 6 mb 2 tt1 5 r 0
s_nop 1                                            // v_accvgpr read vgpr after write vgpr: 2 wait states
ds_bpermute_b32 v5, v0, v5, offset:40              // permute edge values
s_waitcnt 0                                        // wait for swizzle operation
v_accvgpr_write_b32 acc29, v5                      // 
v_accvgpr_read_b32 v5, acc30                       // glvw 6 mb 2 tt1 6 r 0
s_nop 1                                            // v_accvgpr read vgpr after write vgpr: 2 wait states
ds_bpermute_b32 v5, v0, v5, offset:40              // permute edge values
s_waitcnt 0                                        // wait for swizzle operation
v_accvgpr_write_b32 acc30, v5                      // 
v_accvgpr_read_b32 v5, acc31                       // glvw 6 mb 2 tt1 7 r 0
s_nop 1                                            // v_accvgpr read vgpr after write vgpr: 2 wait states
ds_bpermute_b32 v5, v0, v5, offset:40              // permute edge values
s_waitcnt 0                                        // wait for swizzle operation
v_accvgpr_write_b32 acc31, v5                      // 
v_accvgpr_read_b32 v5, acc32                       // glvw 6 mb 2 tt1 8 r 0
s_nop 1                                            // v_accvgpr read vgpr after write vgpr: 2 wait states
ds_bpermute_b32 v5, v0, v5, offset:40              // permute edge values
s_waitcnt 0                                        // wait for swizzle operation
v_accvgpr_write_b32 acc32, v5                      // 
v_accvgpr_read_b32 v5, acc33                       // glvw 6 mb 2 tt1 9 r 0
s_nop 1                                            // v_accvgpr read vgpr after write vgpr: 2 wait states
ds_bpermute_b32 v5, v0, v5, offset:40              // permute edge values
s_waitcnt 0                                        // wait for swizzle operation
v_accvgpr_write_b32 acc33, v5                      // 
v_accvgpr_read_b32 v5, acc34                       // glvw 6 mb 2 tt1 10 r 0
s_nop 1                                            // v_accvgpr read vgpr after write vgpr: 2 wait states
ds_bpermute_b32 v5, v0, v5, offset:40              // permute edge values
s_waitcnt 0                                        // wait for swizzle operation
v_accvgpr_write_b32 acc34, v5                      // 
v_accvgpr_read_b32 v5, acc35                       // glvw 6 mb 2 tt1 11 r 0
s_nop 1                                            // v_accvgpr read vgpr after write vgpr: 2 wait states
ds_bpermute_b32 v5, v0, v5, offset:40              // permute edge values
s_waitcnt 0                                        // wait for swizzle operation
v_accvgpr_write_b32 acc35, v5                      // 
s_mov_b64 s[32:33], 0xFFFFFFFFFFFFFFFF             // to restore all threads active
s_or_saveexec_b64 vcc, s[32:33]                    // all threads active
s_branch label_0246                                // done shifting


/******************************************/
/* shift d1 r=7 mb=0 vw0                  */
/******************************************/
label_0185: // r7 mb0 vw0 
s_mov_b32 s32, 0                                   // 
_v_cmpx_eq_u32 s[32:33], v4, s32                   // is thread in edge glvw region
v_and_b32 v0, 63, v[vgprSerial]                    // permute register between threads
v_lshlrev_b32 v0, 2, v0                            // permute register between threads
v_accvgpr_read_b32 v5, acc0                        // glvw 7 mb 0 tt1 0 r 0
s_nop 1                                            // v_accvgpr read vgpr after write vgpr: 2 wait states
ds_bpermute_b32 v5, v0, v5, offset:36              // permute edge values
s_waitcnt 0                                        // wait for swizzle operation
v_accvgpr_write_b32 acc0, v5                       // 
v_accvgpr_read_b32 v5, acc1                        // glvw 7 mb 0 tt1 1 r 0
s_nop 1                                            // v_accvgpr read vgpr after write vgpr: 2 wait states
ds_bpermute_b32 v5, v0, v5, offset:36              // permute edge values
s_waitcnt 0                                        // wait for swizzle operation
v_accvgpr_write_b32 acc1, v5                       // 
v_accvgpr_read_b32 v5, acc2                        // glvw 7 mb 0 tt1 2 r 0
s_nop 1                                            // v_accvgpr read vgpr after write vgpr: 2 wait states
ds_bpermute_b32 v5, v0, v5, offset:36              // permute edge values
s_waitcnt 0                                        // wait for swizzle operation
v_accvgpr_write_b32 acc2, v5                       // 
v_accvgpr_read_b32 v5, acc3                        // glvw 7 mb 0 tt1 3 r 0
s_nop 1                                            // v_accvgpr read vgpr after write vgpr: 2 wait states
ds_bpermute_b32 v5, v0, v5, offset:36              // permute edge values
s_waitcnt 0                                        // wait for swizzle operation
v_accvgpr_write_b32 acc3, v5                       // 
v_accvgpr_read_b32 v5, acc4                        // glvw 7 mb 0 tt1 4 r 0
s_nop 1                                            // v_accvgpr read vgpr after write vgpr: 2 wait states
ds_bpermute_b32 v5, v0, v5, offset:36              // permute edge values
s_waitcnt 0                                        // wait for swizzle operation
v_accvgpr_write_b32 acc4, v5                       // 
v_accvgpr_read_b32 v5, acc5                        // glvw 7 mb 0 tt1 5 r 0
s_nop 1                                            // v_accvgpr read vgpr after write vgpr: 2 wait states
ds_bpermute_b32 v5, v0, v5, offset:36              // permute edge values
s_waitcnt 0                                        // wait for swizzle operation
v_accvgpr_write_b32 acc5, v5                       // 
v_accvgpr_read_b32 v5, acc6                        // glvw 7 mb 0 tt1 6 r 0
s_nop 1                                            // v_accvgpr read vgpr after write vgpr: 2 wait states
ds_bpermute_b32 v5, v0, v5, offset:36              // permute edge values
s_waitcnt 0                                        // wait for swizzle operation
v_accvgpr_write_b32 acc6, v5                       // 
v_accvgpr_read_b32 v5, acc7                        // glvw 7 mb 0 tt1 7 r 0
s_nop 1                                            // v_accvgpr read vgpr after write vgpr: 2 wait states
ds_bpermute_b32 v5, v0, v5, offset:36              // permute edge values
s_waitcnt 0                                        // wait for swizzle operation
v_accvgpr_write_b32 acc7, v5                       // 
v_accvgpr_read_b32 v5, acc8                        // glvw 7 mb 0 tt1 8 r 0
s_nop 1                                            // v_accvgpr read vgpr after write vgpr: 2 wait states
ds_bpermute_b32 v5, v0, v5, offset:36              // permute edge values
s_waitcnt 0                                        // wait for swizzle operation
v_accvgpr_write_b32 acc8, v5                       // 
v_accvgpr_read_b32 v5, acc9                        // glvw 7 mb 0 tt1 9 r 0
s_nop 1                                            // v_accvgpr read vgpr after write vgpr: 2 wait states
ds_bpermute_b32 v5, v0, v5, offset:36              // permute edge values
s_waitcnt 0                                        // wait for swizzle operation
v_accvgpr_write_b32 acc9, v5                       // 
v_accvgpr_read_b32 v5, acc10                       // glvw 7 mb 0 tt1 10 r 0
s_nop 1                                            // v_accvgpr read vgpr after write vgpr: 2 wait states
ds_bpermute_b32 v5, v0, v5, offset:36              // permute edge values
s_waitcnt 0                                        // wait for swizzle operation
v_accvgpr_write_b32 acc10, v5                      // 
v_accvgpr_read_b32 v5, acc11                       // glvw 7 mb 0 tt1 11 r 0
s_nop 1                                            // v_accvgpr read vgpr after write vgpr: 2 wait states
ds_bpermute_b32 v5, v0, v5, offset:36              // permute edge values
s_waitcnt 0                                        // wait for swizzle operation
v_accvgpr_write_b32 acc11, v5                      // 
s_mov_b64 s[32:33], 0xFFFFFFFFFFFFFFFF             // to restore all threads active
s_or_saveexec_b64 vcc, s[32:33]                    // all threads active
s_branch label_0246                                // done shifting


/******************************************/
/* shift d1 r=7 mb=1 vw0                  */
/******************************************/
label_0187: // r7 mb1 vw0 
s_mov_b32 s32, 2                                   // 
_v_cmpx_eq_u32 s[32:33], v4, s32                   // is thread in edge glvw region
v_and_b32 v0, 63, v[vgprSerial]                    // permute register between threads
v_lshlrev_b32 v0, 2, v0                            // permute register between threads
v_accvgpr_read_b32 v5, acc12                       // glvw 7 mb 1 tt1 0 r 0
s_nop 1                                            // v_accvgpr read vgpr after write vgpr: 2 wait states
ds_bpermute_b32 v5, v0, v5, offset:36              // permute edge values
s_waitcnt 0                                        // wait for swizzle operation
v_accvgpr_write_b32 acc12, v5                      // 
v_accvgpr_read_b32 v5, acc13                       // glvw 7 mb 1 tt1 1 r 0
s_nop 1                                            // v_accvgpr read vgpr after write vgpr: 2 wait states
ds_bpermute_b32 v5, v0, v5, offset:36              // permute edge values
s_waitcnt 0                                        // wait for swizzle operation
v_accvgpr_write_b32 acc13, v5                      // 
v_accvgpr_read_b32 v5, acc14                       // glvw 7 mb 1 tt1 2 r 0
s_nop 1                                            // v_accvgpr read vgpr after write vgpr: 2 wait states
ds_bpermute_b32 v5, v0, v5, offset:36              // permute edge values
s_waitcnt 0                                        // wait for swizzle operation
v_accvgpr_write_b32 acc14, v5                      // 
v_accvgpr_read_b32 v5, acc15                       // glvw 7 mb 1 tt1 3 r 0
s_nop 1                                            // v_accvgpr read vgpr after write vgpr: 2 wait states
ds_bpermute_b32 v5, v0, v5, offset:36              // permute edge values
s_waitcnt 0                                        // wait for swizzle operation
v_accvgpr_write_b32 acc15, v5                      // 
v_accvgpr_read_b32 v5, acc16                       // glvw 7 mb 1 tt1 4 r 0
s_nop 1                                            // v_accvgpr read vgpr after write vgpr: 2 wait states
ds_bpermute_b32 v5, v0, v5, offset:36              // permute edge values
s_waitcnt 0                                        // wait for swizzle operation
v_accvgpr_write_b32 acc16, v5                      // 
v_accvgpr_read_b32 v5, acc17                       // glvw 7 mb 1 tt1 5 r 0
s_nop 1                                            // v_accvgpr read vgpr after write vgpr: 2 wait states
ds_bpermute_b32 v5, v0, v5, offset:36              // permute edge values
s_waitcnt 0                                        // wait for swizzle operation
v_accvgpr_write_b32 acc17, v5                      // 
v_accvgpr_read_b32 v5, acc18                       // glvw 7 mb 1 tt1 6 r 0
s_nop 1                                            // v_accvgpr read vgpr after write vgpr: 2 wait states
ds_bpermute_b32 v5, v0, v5, offset:36              // permute edge values
s_waitcnt 0                                        // wait for swizzle operation
v_accvgpr_write_b32 acc18, v5                      // 
v_accvgpr_read_b32 v5, acc19                       // glvw 7 mb 1 tt1 7 r 0
s_nop 1                                            // v_accvgpr read vgpr after write vgpr: 2 wait states
ds_bpermute_b32 v5, v0, v5, offset:36              // permute edge values
s_waitcnt 0                                        // wait for swizzle operation
v_accvgpr_write_b32 acc19, v5                      // 
v_accvgpr_read_b32 v5, acc20                       // glvw 7 mb 1 tt1 8 r 0
s_nop 1                                            // v_accvgpr read vgpr after write vgpr: 2 wait states
ds_bpermute_b32 v5, v0, v5, offset:36              // permute edge values
s_waitcnt 0                                        // wait for swizzle operation
v_accvgpr_write_b32 acc20, v5                      // 
v_accvgpr_read_b32 v5, acc21                       // glvw 7 mb 1 tt1 9 r 0
s_nop 1                                            // v_accvgpr read vgpr after write vgpr: 2 wait states
ds_bpermute_b32 v5, v0, v5, offset:36              // permute edge values
s_waitcnt 0                                        // wait for swizzle operation
v_accvgpr_write_b32 acc21, v5                      // 
v_accvgpr_read_b32 v5, acc22                       // glvw 7 mb 1 tt1 10 r 0
s_nop 1                                            // v_accvgpr read vgpr after write vgpr: 2 wait states
ds_bpermute_b32 v5, v0, v5, offset:36              // permute edge values
s_waitcnt 0                                        // wait for swizzle operation
v_accvgpr_write_b32 acc22, v5                      // 
v_accvgpr_read_b32 v5, acc23                       // glvw 7 mb 1 tt1 11 r 0
s_nop 1                                            // v_accvgpr read vgpr after write vgpr: 2 wait states
ds_bpermute_b32 v5, v0, v5, offset:36              // permute edge values
s_waitcnt 0                                        // wait for swizzle operation
v_accvgpr_write_b32 acc23, v5                      // 
s_mov_b64 s[32:33], 0xFFFFFFFFFFFFFFFF             // to restore all threads active
s_or_saveexec_b64 vcc, s[32:33]                    // all threads active
s_branch label_0246                                // done shifting


/******************************************/
/* shift d1 r=7 mb=2 vw0                  */
/******************************************/
label_0189: // r7 mb2 vw0 
s_mov_b32 s32, 4                                   // 
_v_cmpx_eq_u32 s[32:33], v4, s32                   // is thread in edge glvw region
v_and_b32 v0, 63, v[vgprSerial]                    // permute register between threads
v_lshlrev_b32 v0, 2, v0                            // permute register between threads
v_accvgpr_read_b32 v5, acc24                       // glvw 7 mb 2 tt1 0 r 0
s_nop 1                                            // v_accvgpr read vgpr after write vgpr: 2 wait states
ds_bpermute_b32 v5, v0, v5, offset:36              // permute edge values
s_waitcnt 0                                        // wait for swizzle operation
v_accvgpr_write_b32 acc24, v5                      // 
v_accvgpr_read_b32 v5, acc25                       // glvw 7 mb 2 tt1 1 r 0
s_nop 1                                            // v_accvgpr read vgpr after write vgpr: 2 wait states
ds_bpermute_b32 v5, v0, v5, offset:36              // permute edge values
s_waitcnt 0                                        // wait for swizzle operation
v_accvgpr_write_b32 acc25, v5                      // 
v_accvgpr_read_b32 v5, acc26                       // glvw 7 mb 2 tt1 2 r 0
s_nop 1                                            // v_accvgpr read vgpr after write vgpr: 2 wait states
ds_bpermute_b32 v5, v0, v5, offset:36              // permute edge values
s_waitcnt 0                                        // wait for swizzle operation
v_accvgpr_write_b32 acc26, v5                      // 
v_accvgpr_read_b32 v5, acc27                       // glvw 7 mb 2 tt1 3 r 0
s_nop 1                                            // v_accvgpr read vgpr after write vgpr: 2 wait states
ds_bpermute_b32 v5, v0, v5, offset:36              // permute edge values
s_waitcnt 0                                        // wait for swizzle operation
v_accvgpr_write_b32 acc27, v5                      // 
v_accvgpr_read_b32 v5, acc28                       // glvw 7 mb 2 tt1 4 r 0
s_nop 1                                            // v_accvgpr read vgpr after write vgpr: 2 wait states
ds_bpermute_b32 v5, v0, v5, offset:36              // permute edge values
s_waitcnt 0                                        // wait for swizzle operation
v_accvgpr_write_b32 acc28, v5                      // 
v_accvgpr_read_b32 v5, acc29                       // glvw 7 mb 2 tt1 5 r 0
s_nop 1                                            // v_accvgpr read vgpr after write vgpr: 2 wait states
ds_bpermute_b32 v5, v0, v5, offset:36              // permute edge values
s_waitcnt 0                                        // wait for swizzle operation
v_accvgpr_write_b32 acc29, v5                      // 
v_accvgpr_read_b32 v5, acc30                       // glvw 7 mb 2 tt1 6 r 0
s_nop 1                                            // v_accvgpr read vgpr after write vgpr: 2 wait states
ds_bpermute_b32 v5, v0, v5, offset:36              // permute edge values
s_waitcnt 0                                        // wait for swizzle operation
v_accvgpr_write_b32 acc30, v5                      // 
v_accvgpr_read_b32 v5, acc31                       // glvw 7 mb 2 tt1 7 r 0
s_nop 1                                            // v_accvgpr read vgpr after write vgpr: 2 wait states
ds_bpermute_b32 v5, v0, v5, offset:36              // permute edge values
s_waitcnt 0                                        // wait for swizzle operation
v_accvgpr_write_b32 acc31, v5                      // 
v_accvgpr_read_b32 v5, acc32                       // glvw 7 mb 2 tt1 8 r 0
s_nop 1                                            // v_accvgpr read vgpr after write vgpr: 2 wait states
ds_bpermute_b32 v5, v0, v5, offset:36              // permute edge values
s_waitcnt 0                                        // wait for swizzle operation
v_accvgpr_write_b32 acc32, v5                      // 
v_accvgpr_read_b32 v5, acc33                       // glvw 7 mb 2 tt1 9 r 0
s_nop 1                                            // v_accvgpr read vgpr after write vgpr: 2 wait states
ds_bpermute_b32 v5, v0, v5, offset:36              // permute edge values
s_waitcnt 0                                        // wait for swizzle operation
v_accvgpr_write_b32 acc33, v5                      // 
v_accvgpr_read_b32 v5, acc34                       // glvw 7 mb 2 tt1 10 r 0
s_nop 1                                            // v_accvgpr read vgpr after write vgpr: 2 wait states
ds_bpermute_b32 v5, v0, v5, offset:36              // permute edge values
s_waitcnt 0                                        // wait for swizzle operation
v_accvgpr_write_b32 acc34, v5                      // 
v_accvgpr_read_b32 v5, acc35                       // glvw 7 mb 2 tt1 11 r 0
s_nop 1                                            // v_accvgpr read vgpr after write vgpr: 2 wait states
ds_bpermute_b32 v5, v0, v5, offset:36              // permute edge values
s_waitcnt 0                                        // wait for swizzle operation
v_accvgpr_write_b32 acc35, v5                      // 
s_mov_b64 s[32:33], 0xFFFFFFFFFFFFFFFF             // to restore all threads active
s_or_saveexec_b64 vcc, s[32:33]                    // all threads active
s_branch label_0246                                // done shifting


/******************************************/
/* shift d1 r=8 mb=0 vw0                  */
/******************************************/
label_0192: // r8 mb0 vw0 
s_mov_b32 s32, 0                                   // 
_v_cmpx_eq_u32 s[32:33], v4, s32                   // is thread in edge glvw region
v_and_b32 v0, 63, v[vgprSerial]                    // permute register between threads
v_lshlrev_b32 v0, 2, v0                            // permute register between threads
v_accvgpr_read_b32 v5, acc0                        // glvw 8 mb 0 tt1 0 r 0
s_nop 1                                            // v_accvgpr read vgpr after write vgpr: 2 wait states
ds_bpermute_b32 v5, v0, v5, offset:32              // permute edge values
s_waitcnt 0                                        // wait for swizzle operation
v_accvgpr_write_b32 acc0, v5                       // 
v_accvgpr_read_b32 v5, acc1                        // glvw 8 mb 0 tt1 1 r 0
s_nop 1                                            // v_accvgpr read vgpr after write vgpr: 2 wait states
ds_bpermute_b32 v5, v0, v5, offset:32              // permute edge values
s_waitcnt 0                                        // wait for swizzle operation
v_accvgpr_write_b32 acc1, v5                       // 
v_accvgpr_read_b32 v5, acc2                        // glvw 8 mb 0 tt1 2 r 0
s_nop 1                                            // v_accvgpr read vgpr after write vgpr: 2 wait states
ds_bpermute_b32 v5, v0, v5, offset:32              // permute edge values
s_waitcnt 0                                        // wait for swizzle operation
v_accvgpr_write_b32 acc2, v5                       // 
v_accvgpr_read_b32 v5, acc3                        // glvw 8 mb 0 tt1 3 r 0
s_nop 1                                            // v_accvgpr read vgpr after write vgpr: 2 wait states
ds_bpermute_b32 v5, v0, v5, offset:32              // permute edge values
s_waitcnt 0                                        // wait for swizzle operation
v_accvgpr_write_b32 acc3, v5                       // 
v_accvgpr_read_b32 v5, acc4                        // glvw 8 mb 0 tt1 4 r 0
s_nop 1                                            // v_accvgpr read vgpr after write vgpr: 2 wait states
ds_bpermute_b32 v5, v0, v5, offset:32              // permute edge values
s_waitcnt 0                                        // wait for swizzle operation
v_accvgpr_write_b32 acc4, v5                       // 
v_accvgpr_read_b32 v5, acc5                        // glvw 8 mb 0 tt1 5 r 0
s_nop 1                                            // v_accvgpr read vgpr after write vgpr: 2 wait states
ds_bpermute_b32 v5, v0, v5, offset:32              // permute edge values
s_waitcnt 0                                        // wait for swizzle operation
v_accvgpr_write_b32 acc5, v5                       // 
v_accvgpr_read_b32 v5, acc6                        // glvw 8 mb 0 tt1 6 r 0
s_nop 1                                            // v_accvgpr read vgpr after write vgpr: 2 wait states
ds_bpermute_b32 v5, v0, v5, offset:32              // permute edge values
s_waitcnt 0                                        // wait for swizzle operation
v_accvgpr_write_b32 acc6, v5                       // 
v_accvgpr_read_b32 v5, acc7                        // glvw 8 mb 0 tt1 7 r 0
s_nop 1                                            // v_accvgpr read vgpr after write vgpr: 2 wait states
ds_bpermute_b32 v5, v0, v5, offset:32              // permute edge values
s_waitcnt 0                                        // wait for swizzle operation
v_accvgpr_write_b32 acc7, v5                       // 
v_accvgpr_read_b32 v5, acc8                        // glvw 8 mb 0 tt1 8 r 0
s_nop 1                                            // v_accvgpr read vgpr after write vgpr: 2 wait states
ds_bpermute_b32 v5, v0, v5, offset:32              // permute edge values
s_waitcnt 0                                        // wait for swizzle operation
v_accvgpr_write_b32 acc8, v5                       // 
v_accvgpr_read_b32 v5, acc9                        // glvw 8 mb 0 tt1 9 r 0
s_nop 1                                            // v_accvgpr read vgpr after write vgpr: 2 wait states
ds_bpermute_b32 v5, v0, v5, offset:32              // permute edge values
s_waitcnt 0                                        // wait for swizzle operation
v_accvgpr_write_b32 acc9, v5                       // 
v_accvgpr_read_b32 v5, acc10                       // glvw 8 mb 0 tt1 10 r 0
s_nop 1                                            // v_accvgpr read vgpr after write vgpr: 2 wait states
ds_bpermute_b32 v5, v0, v5, offset:32              // permute edge values
s_waitcnt 0                                        // wait for swizzle operation
v_accvgpr_write_b32 acc10, v5                      // 
v_accvgpr_read_b32 v5, acc11                       // glvw 8 mb 0 tt1 11 r 0
s_nop 1                                            // v_accvgpr read vgpr after write vgpr: 2 wait states
ds_bpermute_b32 v5, v0, v5, offset:32              // permute edge values
s_waitcnt 0                                        // wait for swizzle operation
v_accvgpr_write_b32 acc11, v5                      // 
s_mov_b64 s[32:33], 0xFFFFFFFFFFFFFFFF             // to restore all threads active
s_or_saveexec_b64 vcc, s[32:33]                    // all threads active
s_branch label_0246                                // done shifting


/******************************************/
/* shift d1 r=8 mb=1 vw0                  */
/******************************************/
label_0194: // r8 mb1 vw0 
s_mov_b32 s32, 2                                   // 
_v_cmpx_eq_u32 s[32:33], v4, s32                   // is thread in edge glvw region
v_and_b32 v0, 63, v[vgprSerial]                    // permute register between threads
v_lshlrev_b32 v0, 2, v0                            // permute register between threads
v_accvgpr_read_b32 v5, acc12                       // glvw 8 mb 1 tt1 0 r 0
s_nop 1                                            // v_accvgpr read vgpr after write vgpr: 2 wait states
ds_bpermute_b32 v5, v0, v5, offset:32              // permute edge values
s_waitcnt 0                                        // wait for swizzle operation
v_accvgpr_write_b32 acc12, v5                      // 
v_accvgpr_read_b32 v5, acc13                       // glvw 8 mb 1 tt1 1 r 0
s_nop 1                                            // v_accvgpr read vgpr after write vgpr: 2 wait states
ds_bpermute_b32 v5, v0, v5, offset:32              // permute edge values
s_waitcnt 0                                        // wait for swizzle operation
v_accvgpr_write_b32 acc13, v5                      // 
v_accvgpr_read_b32 v5, acc14                       // glvw 8 mb 1 tt1 2 r 0
s_nop 1                                            // v_accvgpr read vgpr after write vgpr: 2 wait states
ds_bpermute_b32 v5, v0, v5, offset:32              // permute edge values
s_waitcnt 0                                        // wait for swizzle operation
v_accvgpr_write_b32 acc14, v5                      // 
v_accvgpr_read_b32 v5, acc15                       // glvw 8 mb 1 tt1 3 r 0
s_nop 1                                            // v_accvgpr read vgpr after write vgpr: 2 wait states
ds_bpermute_b32 v5, v0, v5, offset:32              // permute edge values
s_waitcnt 0                                        // wait for swizzle operation
v_accvgpr_write_b32 acc15, v5                      // 
v_accvgpr_read_b32 v5, acc16                       // glvw 8 mb 1 tt1 4 r 0
s_nop 1                                            // v_accvgpr read vgpr after write vgpr: 2 wait states
ds_bpermute_b32 v5, v0, v5, offset:32              // permute edge values
s_waitcnt 0                                        // wait for swizzle operation
v_accvgpr_write_b32 acc16, v5                      // 
v_accvgpr_read_b32 v5, acc17                       // glvw 8 mb 1 tt1 5 r 0
s_nop 1                                            // v_accvgpr read vgpr after write vgpr: 2 wait states
ds_bpermute_b32 v5, v0, v5, offset:32              // permute edge values
s_waitcnt 0                                        // wait for swizzle operation
v_accvgpr_write_b32 acc17, v5                      // 
v_accvgpr_read_b32 v5, acc18                       // glvw 8 mb 1 tt1 6 r 0
s_nop 1                                            // v_accvgpr read vgpr after write vgpr: 2 wait states
ds_bpermute_b32 v5, v0, v5, offset:32              // permute edge values
s_waitcnt 0                                        // wait for swizzle operation
v_accvgpr_write_b32 acc18, v5                      // 
v_accvgpr_read_b32 v5, acc19                       // glvw 8 mb 1 tt1 7 r 0
s_nop 1                                            // v_accvgpr read vgpr after write vgpr: 2 wait states
ds_bpermute_b32 v5, v0, v5, offset:32              // permute edge values
s_waitcnt 0                                        // wait for swizzle operation
v_accvgpr_write_b32 acc19, v5                      // 
v_accvgpr_read_b32 v5, acc20                       // glvw 8 mb 1 tt1 8 r 0
s_nop 1                                            // v_accvgpr read vgpr after write vgpr: 2 wait states
ds_bpermute_b32 v5, v0, v5, offset:32              // permute edge values
s_waitcnt 0                                        // wait for swizzle operation
v_accvgpr_write_b32 acc20, v5                      // 
v_accvgpr_read_b32 v5, acc21                       // glvw 8 mb 1 tt1 9 r 0
s_nop 1                                            // v_accvgpr read vgpr after write vgpr: 2 wait states
ds_bpermute_b32 v5, v0, v5, offset:32              // permute edge values
s_waitcnt 0                                        // wait for swizzle operation
v_accvgpr_write_b32 acc21, v5                      // 
v_accvgpr_read_b32 v5, acc22                       // glvw 8 mb 1 tt1 10 r 0
s_nop 1                                            // v_accvgpr read vgpr after write vgpr: 2 wait states
ds_bpermute_b32 v5, v0, v5, offset:32              // permute edge values
s_waitcnt 0                                        // wait for swizzle operation
v_accvgpr_write_b32 acc22, v5                      // 
v_accvgpr_read_b32 v5, acc23                       // glvw 8 mb 1 tt1 11 r 0
s_nop 1                                            // v_accvgpr read vgpr after write vgpr: 2 wait states
ds_bpermute_b32 v5, v0, v5, offset:32              // permute edge values
s_waitcnt 0                                        // wait for swizzle operation
v_accvgpr_write_b32 acc23, v5                      // 
s_mov_b64 s[32:33], 0xFFFFFFFFFFFFFFFF             // to restore all threads active
s_or_saveexec_b64 vcc, s[32:33]                    // all threads active
s_branch label_0246                                // done shifting


/******************************************/
/* shift d1 r=8 mb=2 vw0                  */
/******************************************/
label_0196: // r8 mb2 vw0 
s_mov_b32 s32, 4                                   // 
_v_cmpx_eq_u32 s[32:33], v4, s32                   // is thread in edge glvw region
v_and_b32 v0, 63, v[vgprSerial]                    // permute register between threads
v_lshlrev_b32 v0, 2, v0                            // permute register between threads
v_accvgpr_read_b32 v5, acc24                       // glvw 8 mb 2 tt1 0 r 0
s_nop 1                                            // v_accvgpr read vgpr after write vgpr: 2 wait states
ds_bpermute_b32 v5, v0, v5, offset:32              // permute edge values
s_waitcnt 0                                        // wait for swizzle operation
v_accvgpr_write_b32 acc24, v5                      // 
v_accvgpr_read_b32 v5, acc25                       // glvw 8 mb 2 tt1 1 r 0
s_nop 1                                            // v_accvgpr read vgpr after write vgpr: 2 wait states
ds_bpermute_b32 v5, v0, v5, offset:32              // permute edge values
s_waitcnt 0                                        // wait for swizzle operation
v_accvgpr_write_b32 acc25, v5                      // 
v_accvgpr_read_b32 v5, acc26                       // glvw 8 mb 2 tt1 2 r 0
s_nop 1                                            // v_accvgpr read vgpr after write vgpr: 2 wait states
ds_bpermute_b32 v5, v0, v5, offset:32              // permute edge values
s_waitcnt 0                                        // wait for swizzle operation
v_accvgpr_write_b32 acc26, v5                      // 
v_accvgpr_read_b32 v5, acc27                       // glvw 8 mb 2 tt1 3 r 0
s_nop 1                                            // v_accvgpr read vgpr after write vgpr: 2 wait states
ds_bpermute_b32 v5, v0, v5, offset:32              // permute edge values
s_waitcnt 0                                        // wait for swizzle operation
v_accvgpr_write_b32 acc27, v5                      // 
v_accvgpr_read_b32 v5, acc28                       // glvw 8 mb 2 tt1 4 r 0
s_nop 1                                            // v_accvgpr read vgpr after write vgpr: 2 wait states
ds_bpermute_b32 v5, v0, v5, offset:32              // permute edge values
s_waitcnt 0                                        // wait for swizzle operation
v_accvgpr_write_b32 acc28, v5                      // 
v_accvgpr_read_b32 v5, acc29                       // glvw 8 mb 2 tt1 5 r 0
s_nop 1                                            // v_accvgpr read vgpr after write vgpr: 2 wait states
ds_bpermute_b32 v5, v0, v5, offset:32              // permute edge values
s_waitcnt 0                                        // wait for swizzle operation
v_accvgpr_write_b32 acc29, v5                      // 
v_accvgpr_read_b32 v5, acc30                       // glvw 8 mb 2 tt1 6 r 0
s_nop 1                                            // v_accvgpr read vgpr after write vgpr: 2 wait states
ds_bpermute_b32 v5, v0, v5, offset:32              // permute edge values
s_waitcnt 0                                        // wait for swizzle operation
v_accvgpr_write_b32 acc30, v5                      // 
v_accvgpr_read_b32 v5, acc31                       // glvw 8 mb 2 tt1 7 r 0
s_nop 1                                            // v_accvgpr read vgpr after write vgpr: 2 wait states
ds_bpermute_b32 v5, v0, v5, offset:32              // permute edge values
s_waitcnt 0                                        // wait for swizzle operation
v_accvgpr_write_b32 acc31, v5                      // 
v_accvgpr_read_b32 v5, acc32                       // glvw 8 mb 2 tt1 8 r 0
s_nop 1                                            // v_accvgpr read vgpr after write vgpr: 2 wait states
ds_bpermute_b32 v5, v0, v5, offset:32              // permute edge values
s_waitcnt 0                                        // wait for swizzle operation
v_accvgpr_write_b32 acc32, v5                      // 
v_accvgpr_read_b32 v5, acc33                       // glvw 8 mb 2 tt1 9 r 0
s_nop 1                                            // v_accvgpr read vgpr after write vgpr: 2 wait states
ds_bpermute_b32 v5, v0, v5, offset:32              // permute edge values
s_waitcnt 0                                        // wait for swizzle operation
v_accvgpr_write_b32 acc33, v5                      // 
v_accvgpr_read_b32 v5, acc34                       // glvw 8 mb 2 tt1 10 r 0
s_nop 1                                            // v_accvgpr read vgpr after write vgpr: 2 wait states
ds_bpermute_b32 v5, v0, v5, offset:32              // permute edge values
s_waitcnt 0                                        // wait for swizzle operation
v_accvgpr_write_b32 acc34, v5                      // 
v_accvgpr_read_b32 v5, acc35                       // glvw 8 mb 2 tt1 11 r 0
s_nop 1                                            // v_accvgpr read vgpr after write vgpr: 2 wait states
ds_bpermute_b32 v5, v0, v5, offset:32              // permute edge values
s_waitcnt 0                                        // wait for swizzle operation
v_accvgpr_write_b32 acc35, v5                      // 
s_mov_b64 s[32:33], 0xFFFFFFFFFFFFFFFF             // to restore all threads active
s_or_saveexec_b64 vcc, s[32:33]                    // all threads active
s_branch label_0246                                // done shifting


/******************************************/
/* shift d1 r=9 mb=0 vw0                  */
/******************************************/
label_0199: // r9 mb0 vw0 
s_mov_b32 s32, 0                                   // 
_v_cmpx_eq_u32 s[32:33], v4, s32                   // is thread in edge glvw region
v_and_b32 v0, 63, v[vgprSerial]                    // permute register between threads
v_lshlrev_b32 v0, 2, v0                            // permute register between threads
v_accvgpr_read_b32 v5, acc0                        // glvw 9 mb 0 tt1 0 r 0
s_nop 1                                            // v_accvgpr read vgpr after write vgpr: 2 wait states
ds_bpermute_b32 v5, v0, v5, offset:28              // permute edge values
s_waitcnt 0                                        // wait for swizzle operation
v_accvgpr_write_b32 acc0, v5                       // 
v_accvgpr_read_b32 v5, acc1                        // glvw 9 mb 0 tt1 1 r 0
s_nop 1                                            // v_accvgpr read vgpr after write vgpr: 2 wait states
ds_bpermute_b32 v5, v0, v5, offset:28              // permute edge values
s_waitcnt 0                                        // wait for swizzle operation
v_accvgpr_write_b32 acc1, v5                       // 
v_accvgpr_read_b32 v5, acc2                        // glvw 9 mb 0 tt1 2 r 0
s_nop 1                                            // v_accvgpr read vgpr after write vgpr: 2 wait states
ds_bpermute_b32 v5, v0, v5, offset:28              // permute edge values
s_waitcnt 0                                        // wait for swizzle operation
v_accvgpr_write_b32 acc2, v5                       // 
v_accvgpr_read_b32 v5, acc3                        // glvw 9 mb 0 tt1 3 r 0
s_nop 1                                            // v_accvgpr read vgpr after write vgpr: 2 wait states
ds_bpermute_b32 v5, v0, v5, offset:28              // permute edge values
s_waitcnt 0                                        // wait for swizzle operation
v_accvgpr_write_b32 acc3, v5                       // 
v_accvgpr_read_b32 v5, acc4                        // glvw 9 mb 0 tt1 4 r 0
s_nop 1                                            // v_accvgpr read vgpr after write vgpr: 2 wait states
ds_bpermute_b32 v5, v0, v5, offset:28              // permute edge values
s_waitcnt 0                                        // wait for swizzle operation
v_accvgpr_write_b32 acc4, v5                       // 
v_accvgpr_read_b32 v5, acc5                        // glvw 9 mb 0 tt1 5 r 0
s_nop 1                                            // v_accvgpr read vgpr after write vgpr: 2 wait states
ds_bpermute_b32 v5, v0, v5, offset:28              // permute edge values
s_waitcnt 0                                        // wait for swizzle operation
v_accvgpr_write_b32 acc5, v5                       // 
v_accvgpr_read_b32 v5, acc6                        // glvw 9 mb 0 tt1 6 r 0
s_nop 1                                            // v_accvgpr read vgpr after write vgpr: 2 wait states
ds_bpermute_b32 v5, v0, v5, offset:28              // permute edge values
s_waitcnt 0                                        // wait for swizzle operation
v_accvgpr_write_b32 acc6, v5                       // 
v_accvgpr_read_b32 v5, acc7                        // glvw 9 mb 0 tt1 7 r 0
s_nop 1                                            // v_accvgpr read vgpr after write vgpr: 2 wait states
ds_bpermute_b32 v5, v0, v5, offset:28              // permute edge values
s_waitcnt 0                                        // wait for swizzle operation
v_accvgpr_write_b32 acc7, v5                       // 
v_accvgpr_read_b32 v5, acc8                        // glvw 9 mb 0 tt1 8 r 0
s_nop 1                                            // v_accvgpr read vgpr after write vgpr: 2 wait states
ds_bpermute_b32 v5, v0, v5, offset:28              // permute edge values
s_waitcnt 0                                        // wait for swizzle operation
v_accvgpr_write_b32 acc8, v5                       // 
v_accvgpr_read_b32 v5, acc9                        // glvw 9 mb 0 tt1 9 r 0
s_nop 1                                            // v_accvgpr read vgpr after write vgpr: 2 wait states
ds_bpermute_b32 v5, v0, v5, offset:28              // permute edge values
s_waitcnt 0                                        // wait for swizzle operation
v_accvgpr_write_b32 acc9, v5                       // 
v_accvgpr_read_b32 v5, acc10                       // glvw 9 mb 0 tt1 10 r 0
s_nop 1                                            // v_accvgpr read vgpr after write vgpr: 2 wait states
ds_bpermute_b32 v5, v0, v5, offset:28              // permute edge values
s_waitcnt 0                                        // wait for swizzle operation
v_accvgpr_write_b32 acc10, v5                      // 
v_accvgpr_read_b32 v5, acc11                       // glvw 9 mb 0 tt1 11 r 0
s_nop 1                                            // v_accvgpr read vgpr after write vgpr: 2 wait states
ds_bpermute_b32 v5, v0, v5, offset:28              // permute edge values
s_waitcnt 0                                        // wait for swizzle operation
v_accvgpr_write_b32 acc11, v5                      // 
s_mov_b64 s[32:33], 0xFFFFFFFFFFFFFFFF             // to restore all threads active
s_or_saveexec_b64 vcc, s[32:33]                    // all threads active
s_branch label_0246                                // done shifting


/******************************************/
/* shift d1 r=9 mb=1 vw0                  */
/******************************************/
label_0201: // r9 mb1 vw0 
s_mov_b32 s32, 2                                   // 
_v_cmpx_eq_u32 s[32:33], v4, s32                   // is thread in edge glvw region
v_and_b32 v0, 63, v[vgprSerial]                    // permute register between threads
v_lshlrev_b32 v0, 2, v0                            // permute register between threads
v_accvgpr_read_b32 v5, acc12                       // glvw 9 mb 1 tt1 0 r 0
s_nop 1                                            // v_accvgpr read vgpr after write vgpr: 2 wait states
ds_bpermute_b32 v5, v0, v5, offset:28              // permute edge values
s_waitcnt 0                                        // wait for swizzle operation
v_accvgpr_write_b32 acc12, v5                      // 
v_accvgpr_read_b32 v5, acc13                       // glvw 9 mb 1 tt1 1 r 0
s_nop 1                                            // v_accvgpr read vgpr after write vgpr: 2 wait states
ds_bpermute_b32 v5, v0, v5, offset:28              // permute edge values
s_waitcnt 0                                        // wait for swizzle operation
v_accvgpr_write_b32 acc13, v5                      // 
v_accvgpr_read_b32 v5, acc14                       // glvw 9 mb 1 tt1 2 r 0
s_nop 1                                            // v_accvgpr read vgpr after write vgpr: 2 wait states
ds_bpermute_b32 v5, v0, v5, offset:28              // permute edge values
s_waitcnt 0                                        // wait for swizzle operation
v_accvgpr_write_b32 acc14, v5                      // 
v_accvgpr_read_b32 v5, acc15                       // glvw 9 mb 1 tt1 3 r 0
s_nop 1                                            // v_accvgpr read vgpr after write vgpr: 2 wait states
ds_bpermute_b32 v5, v0, v5, offset:28              // permute edge values
s_waitcnt 0                                        // wait for swizzle operation
v_accvgpr_write_b32 acc15, v5                      // 
v_accvgpr_read_b32 v5, acc16                       // glvw 9 mb 1 tt1 4 r 0
s_nop 1                                            // v_accvgpr read vgpr after write vgpr: 2 wait states
ds_bpermute_b32 v5, v0, v5, offset:28              // permute edge values
s_waitcnt 0                                        // wait for swizzle operation
v_accvgpr_write_b32 acc16, v5                      // 
v_accvgpr_read_b32 v5, acc17                       // glvw 9 mb 1 tt1 5 r 0
s_nop 1                                            // v_accvgpr read vgpr after write vgpr: 2 wait states
ds_bpermute_b32 v5, v0, v5, offset:28              // permute edge values
s_waitcnt 0                                        // wait for swizzle operation
v_accvgpr_write_b32 acc17, v5                      // 
v_accvgpr_read_b32 v5, acc18                       // glvw 9 mb 1 tt1 6 r 0
s_nop 1                                            // v_accvgpr read vgpr after write vgpr: 2 wait states
ds_bpermute_b32 v5, v0, v5, offset:28              // permute edge values
s_waitcnt 0                                        // wait for swizzle operation
v_accvgpr_write_b32 acc18, v5                      // 
v_accvgpr_read_b32 v5, acc19                       // glvw 9 mb 1 tt1 7 r 0
s_nop 1                                            // v_accvgpr read vgpr after write vgpr: 2 wait states
ds_bpermute_b32 v5, v0, v5, offset:28              // permute edge values
s_waitcnt 0                                        // wait for swizzle operation
v_accvgpr_write_b32 acc19, v5                      // 
v_accvgpr_read_b32 v5, acc20                       // glvw 9 mb 1 tt1 8 r 0
s_nop 1                                            // v_accvgpr read vgpr after write vgpr: 2 wait states
ds_bpermute_b32 v5, v0, v5, offset:28              // permute edge values
s_waitcnt 0                                        // wait for swizzle operation
v_accvgpr_write_b32 acc20, v5                      // 
v_accvgpr_read_b32 v5, acc21                       // glvw 9 mb 1 tt1 9 r 0
s_nop 1                                            // v_accvgpr read vgpr after write vgpr: 2 wait states
ds_bpermute_b32 v5, v0, v5, offset:28              // permute edge values
s_waitcnt 0                                        // wait for swizzle operation
v_accvgpr_write_b32 acc21, v5                      // 
v_accvgpr_read_b32 v5, acc22                       // glvw 9 mb 1 tt1 10 r 0
s_nop 1                                            // v_accvgpr read vgpr after write vgpr: 2 wait states
ds_bpermute_b32 v5, v0, v5, offset:28              // permute edge values
s_waitcnt 0                                        // wait for swizzle operation
v_accvgpr_write_b32 acc22, v5                      // 
v_accvgpr_read_b32 v5, acc23                       // glvw 9 mb 1 tt1 11 r 0
s_nop 1                                            // v_accvgpr read vgpr after write vgpr: 2 wait states
ds_bpermute_b32 v5, v0, v5, offset:28              // permute edge values
s_waitcnt 0                                        // wait for swizzle operation
v_accvgpr_write_b32 acc23, v5                      // 
s_mov_b64 s[32:33], 0xFFFFFFFFFFFFFFFF             // to restore all threads active
s_or_saveexec_b64 vcc, s[32:33]                    // all threads active
s_branch label_0246                                // done shifting


/******************************************/
/* shift d1 r=9 mb=2 vw0                  */
/******************************************/
label_0203: // r9 mb2 vw0 
s_mov_b32 s32, 4                                   // 
_v_cmpx_eq_u32 s[32:33], v4, s32                   // is thread in edge glvw region
v_and_b32 v0, 63, v[vgprSerial]                    // permute register between threads
v_lshlrev_b32 v0, 2, v0                            // permute register between threads
v_accvgpr_read_b32 v5, acc24                       // glvw 9 mb 2 tt1 0 r 0
s_nop 1                                            // v_accvgpr read vgpr after write vgpr: 2 wait states
ds_bpermute_b32 v5, v0, v5, offset:28              // permute edge values
s_waitcnt 0                                        // wait for swizzle operation
v_accvgpr_write_b32 acc24, v5                      // 
v_accvgpr_read_b32 v5, acc25                       // glvw 9 mb 2 tt1 1 r 0
s_nop 1                                            // v_accvgpr read vgpr after write vgpr: 2 wait states
ds_bpermute_b32 v5, v0, v5, offset:28              // permute edge values
s_waitcnt 0                                        // wait for swizzle operation
v_accvgpr_write_b32 acc25, v5                      // 
v_accvgpr_read_b32 v5, acc26                       // glvw 9 mb 2 tt1 2 r 0
s_nop 1                                            // v_accvgpr read vgpr after write vgpr: 2 wait states
ds_bpermute_b32 v5, v0, v5, offset:28              // permute edge values
s_waitcnt 0                                        // wait for swizzle operation
v_accvgpr_write_b32 acc26, v5                      // 
v_accvgpr_read_b32 v5, acc27                       // glvw 9 mb 2 tt1 3 r 0
s_nop 1                                            // v_accvgpr read vgpr after write vgpr: 2 wait states
ds_bpermute_b32 v5, v0, v5, offset:28              // permute edge values
s_waitcnt 0                                        // wait for swizzle operation
v_accvgpr_write_b32 acc27, v5                      // 
v_accvgpr_read_b32 v5, acc28                       // glvw 9 mb 2 tt1 4 r 0
s_nop 1                                            // v_accvgpr read vgpr after write vgpr: 2 wait states
ds_bpermute_b32 v5, v0, v5, offset:28              // permute edge values
s_waitcnt 0                                        // wait for swizzle operation
v_accvgpr_write_b32 acc28, v5                      // 
v_accvgpr_read_b32 v5, acc29                       // glvw 9 mb 2 tt1 5 r 0
s_nop 1                                            // v_accvgpr read vgpr after write vgpr: 2 wait states
ds_bpermute_b32 v5, v0, v5, offset:28              // permute edge values
s_waitcnt 0                                        // wait for swizzle operation
v_accvgpr_write_b32 acc29, v5                      // 
v_accvgpr_read_b32 v5, acc30                       // glvw 9 mb 2 tt1 6 r 0
s_nop 1                                            // v_accvgpr read vgpr after write vgpr: 2 wait states
ds_bpermute_b32 v5, v0, v5, offset:28              // permute edge values
s_waitcnt 0                                        // wait for swizzle operation
v_accvgpr_write_b32 acc30, v5                      // 
v_accvgpr_read_b32 v5, acc31                       // glvw 9 mb 2 tt1 7 r 0
s_nop 1                                            // v_accvgpr read vgpr after write vgpr: 2 wait states
ds_bpermute_b32 v5, v0, v5, offset:28              // permute edge values
s_waitcnt 0                                        // wait for swizzle operation
v_accvgpr_write_b32 acc31, v5                      // 
v_accvgpr_read_b32 v5, acc32                       // glvw 9 mb 2 tt1 8 r 0
s_nop 1                                            // v_accvgpr read vgpr after write vgpr: 2 wait states
ds_bpermute_b32 v5, v0, v5, offset:28              // permute edge values
s_waitcnt 0                                        // wait for swizzle operation
v_accvgpr_write_b32 acc32, v5                      // 
v_accvgpr_read_b32 v5, acc33                       // glvw 9 mb 2 tt1 9 r 0
s_nop 1                                            // v_accvgpr read vgpr after write vgpr: 2 wait states
ds_bpermute_b32 v5, v0, v5, offset:28              // permute edge values
s_waitcnt 0                                        // wait for swizzle operation
v_accvgpr_write_b32 acc33, v5                      // 
v_accvgpr_read_b32 v5, acc34                       // glvw 9 mb 2 tt1 10 r 0
s_nop 1                                            // v_accvgpr read vgpr after write vgpr: 2 wait states
ds_bpermute_b32 v5, v0, v5, offset:28              // permute edge values
s_waitcnt 0                                        // wait for swizzle operation
v_accvgpr_write_b32 acc34, v5                      // 
v_accvgpr_read_b32 v5, acc35                       // glvw 9 mb 2 tt1 11 r 0
s_nop 1                                            // v_accvgpr read vgpr after write vgpr: 2 wait states
ds_bpermute_b32 v5, v0, v5, offset:28              // permute edge values
s_waitcnt 0                                        // wait for swizzle operation
v_accvgpr_write_b32 acc35, v5                      // 
s_mov_b64 s[32:33], 0xFFFFFFFFFFFFFFFF             // to restore all threads active
s_or_saveexec_b64 vcc, s[32:33]                    // all threads active
s_branch label_0246                                // done shifting


/******************************************/
/* shift d1 r=10 mb=0 vw0                 */
/******************************************/
label_0206: // r10 mb0 vw0 
s_mov_b32 s32, 0                                   // 
_v_cmpx_eq_u32 s[32:33], v4, s32                   // is thread in edge glvw region
v_and_b32 v0, 63, v[vgprSerial]                    // permute register between threads
v_lshlrev_b32 v0, 2, v0                            // permute register between threads
v_accvgpr_read_b32 v5, acc0                        // glvw 10 mb 0 tt1 0 r 0
s_nop 1                                            // v_accvgpr read vgpr after write vgpr: 2 wait states
ds_bpermute_b32 v5, v0, v5, offset:24              // permute edge values
s_waitcnt 0                                        // wait for swizzle operation
v_accvgpr_write_b32 acc0, v5                       // 
v_accvgpr_read_b32 v5, acc1                        // glvw 10 mb 0 tt1 1 r 0
s_nop 1                                            // v_accvgpr read vgpr after write vgpr: 2 wait states
ds_bpermute_b32 v5, v0, v5, offset:24              // permute edge values
s_waitcnt 0                                        // wait for swizzle operation
v_accvgpr_write_b32 acc1, v5                       // 
v_accvgpr_read_b32 v5, acc2                        // glvw 10 mb 0 tt1 2 r 0
s_nop 1                                            // v_accvgpr read vgpr after write vgpr: 2 wait states
ds_bpermute_b32 v5, v0, v5, offset:24              // permute edge values
s_waitcnt 0                                        // wait for swizzle operation
v_accvgpr_write_b32 acc2, v5                       // 
v_accvgpr_read_b32 v5, acc3                        // glvw 10 mb 0 tt1 3 r 0
s_nop 1                                            // v_accvgpr read vgpr after write vgpr: 2 wait states
ds_bpermute_b32 v5, v0, v5, offset:24              // permute edge values
s_waitcnt 0                                        // wait for swizzle operation
v_accvgpr_write_b32 acc3, v5                       // 
v_accvgpr_read_b32 v5, acc4                        // glvw 10 mb 0 tt1 4 r 0
s_nop 1                                            // v_accvgpr read vgpr after write vgpr: 2 wait states
ds_bpermute_b32 v5, v0, v5, offset:24              // permute edge values
s_waitcnt 0                                        // wait for swizzle operation
v_accvgpr_write_b32 acc4, v5                       // 
v_accvgpr_read_b32 v5, acc5                        // glvw 10 mb 0 tt1 5 r 0
s_nop 1                                            // v_accvgpr read vgpr after write vgpr: 2 wait states
ds_bpermute_b32 v5, v0, v5, offset:24              // permute edge values
s_waitcnt 0                                        // wait for swizzle operation
v_accvgpr_write_b32 acc5, v5                       // 
v_accvgpr_read_b32 v5, acc6                        // glvw 10 mb 0 tt1 6 r 0
s_nop 1                                            // v_accvgpr read vgpr after write vgpr: 2 wait states
ds_bpermute_b32 v5, v0, v5, offset:24              // permute edge values
s_waitcnt 0                                        // wait for swizzle operation
v_accvgpr_write_b32 acc6, v5                       // 
v_accvgpr_read_b32 v5, acc7                        // glvw 10 mb 0 tt1 7 r 0
s_nop 1                                            // v_accvgpr read vgpr after write vgpr: 2 wait states
ds_bpermute_b32 v5, v0, v5, offset:24              // permute edge values
s_waitcnt 0                                        // wait for swizzle operation
v_accvgpr_write_b32 acc7, v5                       // 
v_accvgpr_read_b32 v5, acc8                        // glvw 10 mb 0 tt1 8 r 0
s_nop 1                                            // v_accvgpr read vgpr after write vgpr: 2 wait states
ds_bpermute_b32 v5, v0, v5, offset:24              // permute edge values
s_waitcnt 0                                        // wait for swizzle operation
v_accvgpr_write_b32 acc8, v5                       // 
v_accvgpr_read_b32 v5, acc9                        // glvw 10 mb 0 tt1 9 r 0
s_nop 1                                            // v_accvgpr read vgpr after write vgpr: 2 wait states
ds_bpermute_b32 v5, v0, v5, offset:24              // permute edge values
s_waitcnt 0                                        // wait for swizzle operation
v_accvgpr_write_b32 acc9, v5                       // 
v_accvgpr_read_b32 v5, acc10                       // glvw 10 mb 0 tt1 10 r 0
s_nop 1                                            // v_accvgpr read vgpr after write vgpr: 2 wait states
ds_bpermute_b32 v5, v0, v5, offset:24              // permute edge values
s_waitcnt 0                                        // wait for swizzle operation
v_accvgpr_write_b32 acc10, v5                      // 
v_accvgpr_read_b32 v5, acc11                       // glvw 10 mb 0 tt1 11 r 0
s_nop 1                                            // v_accvgpr read vgpr after write vgpr: 2 wait states
ds_bpermute_b32 v5, v0, v5, offset:24              // permute edge values
s_waitcnt 0                                        // wait for swizzle operation
v_accvgpr_write_b32 acc11, v5                      // 
s_mov_b64 s[32:33], 0xFFFFFFFFFFFFFFFF             // to restore all threads active
s_or_saveexec_b64 vcc, s[32:33]                    // all threads active
s_branch label_0246                                // done shifting


/******************************************/
/* shift d1 r=10 mb=1 vw0                 */
/******************************************/
label_0208: // r10 mb1 vw0 
s_mov_b32 s32, 2                                   // 
_v_cmpx_eq_u32 s[32:33], v4, s32                   // is thread in edge glvw region
v_and_b32 v0, 63, v[vgprSerial]                    // permute register between threads
v_lshlrev_b32 v0, 2, v0                            // permute register between threads
v_accvgpr_read_b32 v5, acc12                       // glvw 10 mb 1 tt1 0 r 0
s_nop 1                                            // v_accvgpr read vgpr after write vgpr: 2 wait states
ds_bpermute_b32 v5, v0, v5, offset:24              // permute edge values
s_waitcnt 0                                        // wait for swizzle operation
v_accvgpr_write_b32 acc12, v5                      // 
v_accvgpr_read_b32 v5, acc13                       // glvw 10 mb 1 tt1 1 r 0
s_nop 1                                            // v_accvgpr read vgpr after write vgpr: 2 wait states
ds_bpermute_b32 v5, v0, v5, offset:24              // permute edge values
s_waitcnt 0                                        // wait for swizzle operation
v_accvgpr_write_b32 acc13, v5                      // 
v_accvgpr_read_b32 v5, acc14                       // glvw 10 mb 1 tt1 2 r 0
s_nop 1                                            // v_accvgpr read vgpr after write vgpr: 2 wait states
ds_bpermute_b32 v5, v0, v5, offset:24              // permute edge values
s_waitcnt 0                                        // wait for swizzle operation
v_accvgpr_write_b32 acc14, v5                      // 
v_accvgpr_read_b32 v5, acc15                       // glvw 10 mb 1 tt1 3 r 0
s_nop 1                                            // v_accvgpr read vgpr after write vgpr: 2 wait states
ds_bpermute_b32 v5, v0, v5, offset:24              // permute edge values
s_waitcnt 0                                        // wait for swizzle operation
v_accvgpr_write_b32 acc15, v5                      // 
v_accvgpr_read_b32 v5, acc16                       // glvw 10 mb 1 tt1 4 r 0
s_nop 1                                            // v_accvgpr read vgpr after write vgpr: 2 wait states
ds_bpermute_b32 v5, v0, v5, offset:24              // permute edge values
s_waitcnt 0                                        // wait for swizzle operation
v_accvgpr_write_b32 acc16, v5                      // 
v_accvgpr_read_b32 v5, acc17                       // glvw 10 mb 1 tt1 5 r 0
s_nop 1                                            // v_accvgpr read vgpr after write vgpr: 2 wait states
ds_bpermute_b32 v5, v0, v5, offset:24              // permute edge values
s_waitcnt 0                                        // wait for swizzle operation
v_accvgpr_write_b32 acc17, v5                      // 
v_accvgpr_read_b32 v5, acc18                       // glvw 10 mb 1 tt1 6 r 0
s_nop 1                                            // v_accvgpr read vgpr after write vgpr: 2 wait states
ds_bpermute_b32 v5, v0, v5, offset:24              // permute edge values
s_waitcnt 0                                        // wait for swizzle operation
v_accvgpr_write_b32 acc18, v5                      // 
v_accvgpr_read_b32 v5, acc19                       // glvw 10 mb 1 tt1 7 r 0
s_nop 1                                            // v_accvgpr read vgpr after write vgpr: 2 wait states
ds_bpermute_b32 v5, v0, v5, offset:24              // permute edge values
s_waitcnt 0                                        // wait for swizzle operation
v_accvgpr_write_b32 acc19, v5                      // 
v_accvgpr_read_b32 v5, acc20                       // glvw 10 mb 1 tt1 8 r 0
s_nop 1                                            // v_accvgpr read vgpr after write vgpr: 2 wait states
ds_bpermute_b32 v5, v0, v5, offset:24              // permute edge values
s_waitcnt 0                                        // wait for swizzle operation
v_accvgpr_write_b32 acc20, v5                      // 
v_accvgpr_read_b32 v5, acc21                       // glvw 10 mb 1 tt1 9 r 0
s_nop 1                                            // v_accvgpr read vgpr after write vgpr: 2 wait states
ds_bpermute_b32 v5, v0, v5, offset:24              // permute edge values
s_waitcnt 0                                        // wait for swizzle operation
v_accvgpr_write_b32 acc21, v5                      // 
v_accvgpr_read_b32 v5, acc22                       // glvw 10 mb 1 tt1 10 r 0
s_nop 1                                            // v_accvgpr read vgpr after write vgpr: 2 wait states
ds_bpermute_b32 v5, v0, v5, offset:24              // permute edge values
s_waitcnt 0                                        // wait for swizzle operation
v_accvgpr_write_b32 acc22, v5                      // 
v_accvgpr_read_b32 v5, acc23                       // glvw 10 mb 1 tt1 11 r 0
s_nop 1                                            // v_accvgpr read vgpr after write vgpr: 2 wait states
ds_bpermute_b32 v5, v0, v5, offset:24              // permute edge values
s_waitcnt 0                                        // wait for swizzle operation
v_accvgpr_write_b32 acc23, v5                      // 
s_mov_b64 s[32:33], 0xFFFFFFFFFFFFFFFF             // to restore all threads active
s_or_saveexec_b64 vcc, s[32:33]                    // all threads active
s_branch label_0246                                // done shifting


/******************************************/
/* shift d1 r=10 mb=2 vw0                 */
/******************************************/
label_0210: // r10 mb2 vw0 
s_mov_b32 s32, 4                                   // 
_v_cmpx_eq_u32 s[32:33], v4, s32                   // is thread in edge glvw region
v_and_b32 v0, 63, v[vgprSerial]                    // permute register between threads
v_lshlrev_b32 v0, 2, v0                            // permute register between threads
v_accvgpr_read_b32 v5, acc24                       // glvw 10 mb 2 tt1 0 r 0
s_nop 1                                            // v_accvgpr read vgpr after write vgpr: 2 wait states
ds_bpermute_b32 v5, v0, v5, offset:24              // permute edge values
s_waitcnt 0                                        // wait for swizzle operation
v_accvgpr_write_b32 acc24, v5                      // 
v_accvgpr_read_b32 v5, acc25                       // glvw 10 mb 2 tt1 1 r 0
s_nop 1                                            // v_accvgpr read vgpr after write vgpr: 2 wait states
ds_bpermute_b32 v5, v0, v5, offset:24              // permute edge values
s_waitcnt 0                                        // wait for swizzle operation
v_accvgpr_write_b32 acc25, v5                      // 
v_accvgpr_read_b32 v5, acc26                       // glvw 10 mb 2 tt1 2 r 0
s_nop 1                                            // v_accvgpr read vgpr after write vgpr: 2 wait states
ds_bpermute_b32 v5, v0, v5, offset:24              // permute edge values
s_waitcnt 0                                        // wait for swizzle operation
v_accvgpr_write_b32 acc26, v5                      // 
v_accvgpr_read_b32 v5, acc27                       // glvw 10 mb 2 tt1 3 r 0
s_nop 1                                            // v_accvgpr read vgpr after write vgpr: 2 wait states
ds_bpermute_b32 v5, v0, v5, offset:24              // permute edge values
s_waitcnt 0                                        // wait for swizzle operation
v_accvgpr_write_b32 acc27, v5                      // 
v_accvgpr_read_b32 v5, acc28                       // glvw 10 mb 2 tt1 4 r 0
s_nop 1                                            // v_accvgpr read vgpr after write vgpr: 2 wait states
ds_bpermute_b32 v5, v0, v5, offset:24              // permute edge values
s_waitcnt 0                                        // wait for swizzle operation
v_accvgpr_write_b32 acc28, v5                      // 
v_accvgpr_read_b32 v5, acc29                       // glvw 10 mb 2 tt1 5 r 0
s_nop 1                                            // v_accvgpr read vgpr after write vgpr: 2 wait states
ds_bpermute_b32 v5, v0, v5, offset:24              // permute edge values
s_waitcnt 0                                        // wait for swizzle operation
v_accvgpr_write_b32 acc29, v5                      // 
v_accvgpr_read_b32 v5, acc30                       // glvw 10 mb 2 tt1 6 r 0
s_nop 1                                            // v_accvgpr read vgpr after write vgpr: 2 wait states
ds_bpermute_b32 v5, v0, v5, offset:24              // permute edge values
s_waitcnt 0                                        // wait for swizzle operation
v_accvgpr_write_b32 acc30, v5                      // 
v_accvgpr_read_b32 v5, acc31                       // glvw 10 mb 2 tt1 7 r 0
s_nop 1                                            // v_accvgpr read vgpr after write vgpr: 2 wait states
ds_bpermute_b32 v5, v0, v5, offset:24              // permute edge values
s_waitcnt 0                                        // wait for swizzle operation
v_accvgpr_write_b32 acc31, v5                      // 
v_accvgpr_read_b32 v5, acc32                       // glvw 10 mb 2 tt1 8 r 0
s_nop 1                                            // v_accvgpr read vgpr after write vgpr: 2 wait states
ds_bpermute_b32 v5, v0, v5, offset:24              // permute edge values
s_waitcnt 0                                        // wait for swizzle operation
v_accvgpr_write_b32 acc32, v5                      // 
v_accvgpr_read_b32 v5, acc33                       // glvw 10 mb 2 tt1 9 r 0
s_nop 1                                            // v_accvgpr read vgpr after write vgpr: 2 wait states
ds_bpermute_b32 v5, v0, v5, offset:24              // permute edge values
s_waitcnt 0                                        // wait for swizzle operation
v_accvgpr_write_b32 acc33, v5                      // 
v_accvgpr_read_b32 v5, acc34                       // glvw 10 mb 2 tt1 10 r 0
s_nop 1                                            // v_accvgpr read vgpr after write vgpr: 2 wait states
ds_bpermute_b32 v5, v0, v5, offset:24              // permute edge values
s_waitcnt 0                                        // wait for swizzle operation
v_accvgpr_write_b32 acc34, v5                      // 
v_accvgpr_read_b32 v5, acc35                       // glvw 10 mb 2 tt1 11 r 0
s_nop 1                                            // v_accvgpr read vgpr after write vgpr: 2 wait states
ds_bpermute_b32 v5, v0, v5, offset:24              // permute edge values
s_waitcnt 0                                        // wait for swizzle operation
v_accvgpr_write_b32 acc35, v5                      // 
s_mov_b64 s[32:33], 0xFFFFFFFFFFFFFFFF             // to restore all threads active
s_or_saveexec_b64 vcc, s[32:33]                    // all threads active
s_branch label_0246                                // done shifting


/******************************************/
/* shift d1 r=11 mb=0 vw0                 */
/******************************************/
label_0213: // r11 mb0 vw0 
s_mov_b32 s32, 0                                   // 
_v_cmpx_eq_u32 s[32:33], v4, s32                   // is thread in edge glvw region
v_and_b32 v0, 63, v[vgprSerial]                    // permute register between threads
v_lshlrev_b32 v0, 2, v0                            // permute register between threads
v_accvgpr_read_b32 v5, acc0                        // glvw 11 mb 0 tt1 0 r 0
s_nop 1                                            // v_accvgpr read vgpr after write vgpr: 2 wait states
ds_bpermute_b32 v5, v0, v5, offset:20              // permute edge values
s_waitcnt 0                                        // wait for swizzle operation
v_accvgpr_write_b32 acc0, v5                       // 
v_accvgpr_read_b32 v5, acc1                        // glvw 11 mb 0 tt1 1 r 0
s_nop 1                                            // v_accvgpr read vgpr after write vgpr: 2 wait states
ds_bpermute_b32 v5, v0, v5, offset:20              // permute edge values
s_waitcnt 0                                        // wait for swizzle operation
v_accvgpr_write_b32 acc1, v5                       // 
v_accvgpr_read_b32 v5, acc2                        // glvw 11 mb 0 tt1 2 r 0
s_nop 1                                            // v_accvgpr read vgpr after write vgpr: 2 wait states
ds_bpermute_b32 v5, v0, v5, offset:20              // permute edge values
s_waitcnt 0                                        // wait for swizzle operation
v_accvgpr_write_b32 acc2, v5                       // 
v_accvgpr_read_b32 v5, acc3                        // glvw 11 mb 0 tt1 3 r 0
s_nop 1                                            // v_accvgpr read vgpr after write vgpr: 2 wait states
ds_bpermute_b32 v5, v0, v5, offset:20              // permute edge values
s_waitcnt 0                                        // wait for swizzle operation
v_accvgpr_write_b32 acc3, v5                       // 
v_accvgpr_read_b32 v5, acc4                        // glvw 11 mb 0 tt1 4 r 0
s_nop 1                                            // v_accvgpr read vgpr after write vgpr: 2 wait states
ds_bpermute_b32 v5, v0, v5, offset:20              // permute edge values
s_waitcnt 0                                        // wait for swizzle operation
v_accvgpr_write_b32 acc4, v5                       // 
v_accvgpr_read_b32 v5, acc5                        // glvw 11 mb 0 tt1 5 r 0
s_nop 1                                            // v_accvgpr read vgpr after write vgpr: 2 wait states
ds_bpermute_b32 v5, v0, v5, offset:20              // permute edge values
s_waitcnt 0                                        // wait for swizzle operation
v_accvgpr_write_b32 acc5, v5                       // 
v_accvgpr_read_b32 v5, acc6                        // glvw 11 mb 0 tt1 6 r 0
s_nop 1                                            // v_accvgpr read vgpr after write vgpr: 2 wait states
ds_bpermute_b32 v5, v0, v5, offset:20              // permute edge values
s_waitcnt 0                                        // wait for swizzle operation
v_accvgpr_write_b32 acc6, v5                       // 
v_accvgpr_read_b32 v5, acc7                        // glvw 11 mb 0 tt1 7 r 0
s_nop 1                                            // v_accvgpr read vgpr after write vgpr: 2 wait states
ds_bpermute_b32 v5, v0, v5, offset:20              // permute edge values
s_waitcnt 0                                        // wait for swizzle operation
v_accvgpr_write_b32 acc7, v5                       // 
v_accvgpr_read_b32 v5, acc8                        // glvw 11 mb 0 tt1 8 r 0
s_nop 1                                            // v_accvgpr read vgpr after write vgpr: 2 wait states
ds_bpermute_b32 v5, v0, v5, offset:20              // permute edge values
s_waitcnt 0                                        // wait for swizzle operation
v_accvgpr_write_b32 acc8, v5                       // 
v_accvgpr_read_b32 v5, acc9                        // glvw 11 mb 0 tt1 9 r 0
s_nop 1                                            // v_accvgpr read vgpr after write vgpr: 2 wait states
ds_bpermute_b32 v5, v0, v5, offset:20              // permute edge values
s_waitcnt 0                                        // wait for swizzle operation
v_accvgpr_write_b32 acc9, v5                       // 
v_accvgpr_read_b32 v5, acc10                       // glvw 11 mb 0 tt1 10 r 0
s_nop 1                                            // v_accvgpr read vgpr after write vgpr: 2 wait states
ds_bpermute_b32 v5, v0, v5, offset:20              // permute edge values
s_waitcnt 0                                        // wait for swizzle operation
v_accvgpr_write_b32 acc10, v5                      // 
v_accvgpr_read_b32 v5, acc11                       // glvw 11 mb 0 tt1 11 r 0
s_nop 1                                            // v_accvgpr read vgpr after write vgpr: 2 wait states
ds_bpermute_b32 v5, v0, v5, offset:20              // permute edge values
s_waitcnt 0                                        // wait for swizzle operation
v_accvgpr_write_b32 acc11, v5                      // 
s_mov_b64 s[32:33], 0xFFFFFFFFFFFFFFFF             // to restore all threads active
s_or_saveexec_b64 vcc, s[32:33]                    // all threads active
s_branch label_0246                                // done shifting


/******************************************/
/* shift d1 r=11 mb=1 vw0                 */
/******************************************/
label_0215: // r11 mb1 vw0 
s_mov_b32 s32, 2                                   // 
_v_cmpx_eq_u32 s[32:33], v4, s32                   // is thread in edge glvw region
v_and_b32 v0, 63, v[vgprSerial]                    // permute register between threads
v_lshlrev_b32 v0, 2, v0                            // permute register between threads
v_accvgpr_read_b32 v5, acc12                       // glvw 11 mb 1 tt1 0 r 0
s_nop 1                                            // v_accvgpr read vgpr after write vgpr: 2 wait states
ds_bpermute_b32 v5, v0, v5, offset:20              // permute edge values
s_waitcnt 0                                        // wait for swizzle operation
v_accvgpr_write_b32 acc12, v5                      // 
v_accvgpr_read_b32 v5, acc13                       // glvw 11 mb 1 tt1 1 r 0
s_nop 1                                            // v_accvgpr read vgpr after write vgpr: 2 wait states
ds_bpermute_b32 v5, v0, v5, offset:20              // permute edge values
s_waitcnt 0                                        // wait for swizzle operation
v_accvgpr_write_b32 acc13, v5                      // 
v_accvgpr_read_b32 v5, acc14                       // glvw 11 mb 1 tt1 2 r 0
s_nop 1                                            // v_accvgpr read vgpr after write vgpr: 2 wait states
ds_bpermute_b32 v5, v0, v5, offset:20              // permute edge values
s_waitcnt 0                                        // wait for swizzle operation
v_accvgpr_write_b32 acc14, v5                      // 
v_accvgpr_read_b32 v5, acc15                       // glvw 11 mb 1 tt1 3 r 0
s_nop 1                                            // v_accvgpr read vgpr after write vgpr: 2 wait states
ds_bpermute_b32 v5, v0, v5, offset:20              // permute edge values
s_waitcnt 0                                        // wait for swizzle operation
v_accvgpr_write_b32 acc15, v5                      // 
v_accvgpr_read_b32 v5, acc16                       // glvw 11 mb 1 tt1 4 r 0
s_nop 1                                            // v_accvgpr read vgpr after write vgpr: 2 wait states
ds_bpermute_b32 v5, v0, v5, offset:20              // permute edge values
s_waitcnt 0                                        // wait for swizzle operation
v_accvgpr_write_b32 acc16, v5                      // 
v_accvgpr_read_b32 v5, acc17                       // glvw 11 mb 1 tt1 5 r 0
s_nop 1                                            // v_accvgpr read vgpr after write vgpr: 2 wait states
ds_bpermute_b32 v5, v0, v5, offset:20              // permute edge values
s_waitcnt 0                                        // wait for swizzle operation
v_accvgpr_write_b32 acc17, v5                      // 
v_accvgpr_read_b32 v5, acc18                       // glvw 11 mb 1 tt1 6 r 0
s_nop 1                                            // v_accvgpr read vgpr after write vgpr: 2 wait states
ds_bpermute_b32 v5, v0, v5, offset:20              // permute edge values
s_waitcnt 0                                        // wait for swizzle operation
v_accvgpr_write_b32 acc18, v5                      // 
v_accvgpr_read_b32 v5, acc19                       // glvw 11 mb 1 tt1 7 r 0
s_nop 1                                            // v_accvgpr read vgpr after write vgpr: 2 wait states
ds_bpermute_b32 v5, v0, v5, offset:20              // permute edge values
s_waitcnt 0                                        // wait for swizzle operation
v_accvgpr_write_b32 acc19, v5                      // 
v_accvgpr_read_b32 v5, acc20                       // glvw 11 mb 1 tt1 8 r 0
s_nop 1                                            // v_accvgpr read vgpr after write vgpr: 2 wait states
ds_bpermute_b32 v5, v0, v5, offset:20              // permute edge values
s_waitcnt 0                                        // wait for swizzle operation
v_accvgpr_write_b32 acc20, v5                      // 
v_accvgpr_read_b32 v5, acc21                       // glvw 11 mb 1 tt1 9 r 0
s_nop 1                                            // v_accvgpr read vgpr after write vgpr: 2 wait states
ds_bpermute_b32 v5, v0, v5, offset:20              // permute edge values
s_waitcnt 0                                        // wait for swizzle operation
v_accvgpr_write_b32 acc21, v5                      // 
v_accvgpr_read_b32 v5, acc22                       // glvw 11 mb 1 tt1 10 r 0
s_nop 1                                            // v_accvgpr read vgpr after write vgpr: 2 wait states
ds_bpermute_b32 v5, v0, v5, offset:20              // permute edge values
s_waitcnt 0                                        // wait for swizzle operation
v_accvgpr_write_b32 acc22, v5                      // 
v_accvgpr_read_b32 v5, acc23                       // glvw 11 mb 1 tt1 11 r 0
s_nop 1                                            // v_accvgpr read vgpr after write vgpr: 2 wait states
ds_bpermute_b32 v5, v0, v5, offset:20              // permute edge values
s_waitcnt 0                                        // wait for swizzle operation
v_accvgpr_write_b32 acc23, v5                      // 
s_mov_b64 s[32:33], 0xFFFFFFFFFFFFFFFF             // to restore all threads active
s_or_saveexec_b64 vcc, s[32:33]                    // all threads active
s_branch label_0246                                // done shifting


/******************************************/
/* shift d1 r=11 mb=2 vw0                 */
/******************************************/
label_0217: // r11 mb2 vw0 
s_mov_b32 s32, 4                                   // 
_v_cmpx_eq_u32 s[32:33], v4, s32                   // is thread in edge glvw region
v_and_b32 v0, 63, v[vgprSerial]                    // permute register between threads
v_lshlrev_b32 v0, 2, v0                            // permute register between threads
v_accvgpr_read_b32 v5, acc24                       // glvw 11 mb 2 tt1 0 r 0
s_nop 1                                            // v_accvgpr read vgpr after write vgpr: 2 wait states
ds_bpermute_b32 v5, v0, v5, offset:20              // permute edge values
s_waitcnt 0                                        // wait for swizzle operation
v_accvgpr_write_b32 acc24, v5                      // 
v_accvgpr_read_b32 v5, acc25                       // glvw 11 mb 2 tt1 1 r 0
s_nop 1                                            // v_accvgpr read vgpr after write vgpr: 2 wait states
ds_bpermute_b32 v5, v0, v5, offset:20              // permute edge values
s_waitcnt 0                                        // wait for swizzle operation
v_accvgpr_write_b32 acc25, v5                      // 
v_accvgpr_read_b32 v5, acc26                       // glvw 11 mb 2 tt1 2 r 0
s_nop 1                                            // v_accvgpr read vgpr after write vgpr: 2 wait states
ds_bpermute_b32 v5, v0, v5, offset:20              // permute edge values
s_waitcnt 0                                        // wait for swizzle operation
v_accvgpr_write_b32 acc26, v5                      // 
v_accvgpr_read_b32 v5, acc27                       // glvw 11 mb 2 tt1 3 r 0
s_nop 1                                            // v_accvgpr read vgpr after write vgpr: 2 wait states
ds_bpermute_b32 v5, v0, v5, offset:20              // permute edge values
s_waitcnt 0                                        // wait for swizzle operation
v_accvgpr_write_b32 acc27, v5                      // 
v_accvgpr_read_b32 v5, acc28                       // glvw 11 mb 2 tt1 4 r 0
s_nop 1                                            // v_accvgpr read vgpr after write vgpr: 2 wait states
ds_bpermute_b32 v5, v0, v5, offset:20              // permute edge values
s_waitcnt 0                                        // wait for swizzle operation
v_accvgpr_write_b32 acc28, v5                      // 
v_accvgpr_read_b32 v5, acc29                       // glvw 11 mb 2 tt1 5 r 0
s_nop 1                                            // v_accvgpr read vgpr after write vgpr: 2 wait states
ds_bpermute_b32 v5, v0, v5, offset:20              // permute edge values
s_waitcnt 0                                        // wait for swizzle operation
v_accvgpr_write_b32 acc29, v5                      // 
v_accvgpr_read_b32 v5, acc30                       // glvw 11 mb 2 tt1 6 r 0
s_nop 1                                            // v_accvgpr read vgpr after write vgpr: 2 wait states
ds_bpermute_b32 v5, v0, v5, offset:20              // permute edge values
s_waitcnt 0                                        // wait for swizzle operation
v_accvgpr_write_b32 acc30, v5                      // 
v_accvgpr_read_b32 v5, acc31                       // glvw 11 mb 2 tt1 7 r 0
s_nop 1                                            // v_accvgpr read vgpr after write vgpr: 2 wait states
ds_bpermute_b32 v5, v0, v5, offset:20              // permute edge values
s_waitcnt 0                                        // wait for swizzle operation
v_accvgpr_write_b32 acc31, v5                      // 
v_accvgpr_read_b32 v5, acc32                       // glvw 11 mb 2 tt1 8 r 0
s_nop 1                                            // v_accvgpr read vgpr after write vgpr: 2 wait states
ds_bpermute_b32 v5, v0, v5, offset:20              // permute edge values
s_waitcnt 0                                        // wait for swizzle operation
v_accvgpr_write_b32 acc32, v5                      // 
v_accvgpr_read_b32 v5, acc33                       // glvw 11 mb 2 tt1 9 r 0
s_nop 1                                            // v_accvgpr read vgpr after write vgpr: 2 wait states
ds_bpermute_b32 v5, v0, v5, offset:20              // permute edge values
s_waitcnt 0                                        // wait for swizzle operation
v_accvgpr_write_b32 acc33, v5                      // 
v_accvgpr_read_b32 v5, acc34                       // glvw 11 mb 2 tt1 10 r 0
s_nop 1                                            // v_accvgpr read vgpr after write vgpr: 2 wait states
ds_bpermute_b32 v5, v0, v5, offset:20              // permute edge values
s_waitcnt 0                                        // wait for swizzle operation
v_accvgpr_write_b32 acc34, v5                      // 
v_accvgpr_read_b32 v5, acc35                       // glvw 11 mb 2 tt1 11 r 0
s_nop 1                                            // v_accvgpr read vgpr after write vgpr: 2 wait states
ds_bpermute_b32 v5, v0, v5, offset:20              // permute edge values
s_waitcnt 0                                        // wait for swizzle operation
v_accvgpr_write_b32 acc35, v5                      // 
s_mov_b64 s[32:33], 0xFFFFFFFFFFFFFFFF             // to restore all threads active
s_or_saveexec_b64 vcc, s[32:33]                    // all threads active
s_branch label_0246                                // done shifting


/******************************************/
/* shift d1 r=12 mb=0 vw0                 */
/******************************************/
label_0220: // r12 mb0 vw0 
s_mov_b32 s32, 0                                   // 
_v_cmpx_eq_u32 s[32:33], v4, s32                   // is thread in edge glvw region
v_and_b32 v0, 63, v[vgprSerial]                    // permute register between threads
v_lshlrev_b32 v0, 2, v0                            // permute register between threads
v_accvgpr_read_b32 v5, acc0                        // glvw 12 mb 0 tt1 0 r 0
s_nop 1                                            // v_accvgpr read vgpr after write vgpr: 2 wait states
ds_bpermute_b32 v5, v0, v5, offset:16              // permute edge values
s_waitcnt 0                                        // wait for swizzle operation
v_accvgpr_write_b32 acc0, v5                       // 
v_accvgpr_read_b32 v5, acc1                        // glvw 12 mb 0 tt1 1 r 0
s_nop 1                                            // v_accvgpr read vgpr after write vgpr: 2 wait states
ds_bpermute_b32 v5, v0, v5, offset:16              // permute edge values
s_waitcnt 0                                        // wait for swizzle operation
v_accvgpr_write_b32 acc1, v5                       // 
v_accvgpr_read_b32 v5, acc2                        // glvw 12 mb 0 tt1 2 r 0
s_nop 1                                            // v_accvgpr read vgpr after write vgpr: 2 wait states
ds_bpermute_b32 v5, v0, v5, offset:16              // permute edge values
s_waitcnt 0                                        // wait for swizzle operation
v_accvgpr_write_b32 acc2, v5                       // 
v_accvgpr_read_b32 v5, acc3                        // glvw 12 mb 0 tt1 3 r 0
s_nop 1                                            // v_accvgpr read vgpr after write vgpr: 2 wait states
ds_bpermute_b32 v5, v0, v5, offset:16              // permute edge values
s_waitcnt 0                                        // wait for swizzle operation
v_accvgpr_write_b32 acc3, v5                       // 
v_accvgpr_read_b32 v5, acc4                        // glvw 12 mb 0 tt1 4 r 0
s_nop 1                                            // v_accvgpr read vgpr after write vgpr: 2 wait states
ds_bpermute_b32 v5, v0, v5, offset:16              // permute edge values
s_waitcnt 0                                        // wait for swizzle operation
v_accvgpr_write_b32 acc4, v5                       // 
v_accvgpr_read_b32 v5, acc5                        // glvw 12 mb 0 tt1 5 r 0
s_nop 1                                            // v_accvgpr read vgpr after write vgpr: 2 wait states
ds_bpermute_b32 v5, v0, v5, offset:16              // permute edge values
s_waitcnt 0                                        // wait for swizzle operation
v_accvgpr_write_b32 acc5, v5                       // 
v_accvgpr_read_b32 v5, acc6                        // glvw 12 mb 0 tt1 6 r 0
s_nop 1                                            // v_accvgpr read vgpr after write vgpr: 2 wait states
ds_bpermute_b32 v5, v0, v5, offset:16              // permute edge values
s_waitcnt 0                                        // wait for swizzle operation
v_accvgpr_write_b32 acc6, v5                       // 
v_accvgpr_read_b32 v5, acc7                        // glvw 12 mb 0 tt1 7 r 0
s_nop 1                                            // v_accvgpr read vgpr after write vgpr: 2 wait states
ds_bpermute_b32 v5, v0, v5, offset:16              // permute edge values
s_waitcnt 0                                        // wait for swizzle operation
v_accvgpr_write_b32 acc7, v5                       // 
v_accvgpr_read_b32 v5, acc8                        // glvw 12 mb 0 tt1 8 r 0
s_nop 1                                            // v_accvgpr read vgpr after write vgpr: 2 wait states
ds_bpermute_b32 v5, v0, v5, offset:16              // permute edge values
s_waitcnt 0                                        // wait for swizzle operation
v_accvgpr_write_b32 acc8, v5                       // 
v_accvgpr_read_b32 v5, acc9                        // glvw 12 mb 0 tt1 9 r 0
s_nop 1                                            // v_accvgpr read vgpr after write vgpr: 2 wait states
ds_bpermute_b32 v5, v0, v5, offset:16              // permute edge values
s_waitcnt 0                                        // wait for swizzle operation
v_accvgpr_write_b32 acc9, v5                       // 
v_accvgpr_read_b32 v5, acc10                       // glvw 12 mb 0 tt1 10 r 0
s_nop 1                                            // v_accvgpr read vgpr after write vgpr: 2 wait states
ds_bpermute_b32 v5, v0, v5, offset:16              // permute edge values
s_waitcnt 0                                        // wait for swizzle operation
v_accvgpr_write_b32 acc10, v5                      // 
v_accvgpr_read_b32 v5, acc11                       // glvw 12 mb 0 tt1 11 r 0
s_nop 1                                            // v_accvgpr read vgpr after write vgpr: 2 wait states
ds_bpermute_b32 v5, v0, v5, offset:16              // permute edge values
s_waitcnt 0                                        // wait for swizzle operation
v_accvgpr_write_b32 acc11, v5                      // 
s_mov_b64 s[32:33], 0xFFFFFFFFFFFFFFFF             // to restore all threads active
s_or_saveexec_b64 vcc, s[32:33]                    // all threads active
s_branch label_0246                                // done shifting


/******************************************/
/* shift d1 r=12 mb=1 vw0                 */
/******************************************/
label_0222: // r12 mb1 vw0 
s_mov_b32 s32, 2                                   // 
_v_cmpx_eq_u32 s[32:33], v4, s32                   // is thread in edge glvw region
v_and_b32 v0, 63, v[vgprSerial]                    // permute register between threads
v_lshlrev_b32 v0, 2, v0                            // permute register between threads
v_accvgpr_read_b32 v5, acc12                       // glvw 12 mb 1 tt1 0 r 0
s_nop 1                                            // v_accvgpr read vgpr after write vgpr: 2 wait states
ds_bpermute_b32 v5, v0, v5, offset:16              // permute edge values
s_waitcnt 0                                        // wait for swizzle operation
v_accvgpr_write_b32 acc12, v5                      // 
v_accvgpr_read_b32 v5, acc13                       // glvw 12 mb 1 tt1 1 r 0
s_nop 1                                            // v_accvgpr read vgpr after write vgpr: 2 wait states
ds_bpermute_b32 v5, v0, v5, offset:16              // permute edge values
s_waitcnt 0                                        // wait for swizzle operation
v_accvgpr_write_b32 acc13, v5                      // 
v_accvgpr_read_b32 v5, acc14                       // glvw 12 mb 1 tt1 2 r 0
s_nop 1                                            // v_accvgpr read vgpr after write vgpr: 2 wait states
ds_bpermute_b32 v5, v0, v5, offset:16              // permute edge values
s_waitcnt 0                                        // wait for swizzle operation
v_accvgpr_write_b32 acc14, v5                      // 
v_accvgpr_read_b32 v5, acc15                       // glvw 12 mb 1 tt1 3 r 0
s_nop 1                                            // v_accvgpr read vgpr after write vgpr: 2 wait states
ds_bpermute_b32 v5, v0, v5, offset:16              // permute edge values
s_waitcnt 0                                        // wait for swizzle operation
v_accvgpr_write_b32 acc15, v5                      // 
v_accvgpr_read_b32 v5, acc16                       // glvw 12 mb 1 tt1 4 r 0
s_nop 1                                            // v_accvgpr read vgpr after write vgpr: 2 wait states
ds_bpermute_b32 v5, v0, v5, offset:16              // permute edge values
s_waitcnt 0                                        // wait for swizzle operation
v_accvgpr_write_b32 acc16, v5                      // 
v_accvgpr_read_b32 v5, acc17                       // glvw 12 mb 1 tt1 5 r 0
s_nop 1                                            // v_accvgpr read vgpr after write vgpr: 2 wait states
ds_bpermute_b32 v5, v0, v5, offset:16              // permute edge values
s_waitcnt 0                                        // wait for swizzle operation
v_accvgpr_write_b32 acc17, v5                      // 
v_accvgpr_read_b32 v5, acc18                       // glvw 12 mb 1 tt1 6 r 0
s_nop 1                                            // v_accvgpr read vgpr after write vgpr: 2 wait states
ds_bpermute_b32 v5, v0, v5, offset:16              // permute edge values
s_waitcnt 0                                        // wait for swizzle operation
v_accvgpr_write_b32 acc18, v5                      // 
v_accvgpr_read_b32 v5, acc19                       // glvw 12 mb 1 tt1 7 r 0
s_nop 1                                            // v_accvgpr read vgpr after write vgpr: 2 wait states
ds_bpermute_b32 v5, v0, v5, offset:16              // permute edge values
s_waitcnt 0                                        // wait for swizzle operation
v_accvgpr_write_b32 acc19, v5                      // 
v_accvgpr_read_b32 v5, acc20                       // glvw 12 mb 1 tt1 8 r 0
s_nop 1                                            // v_accvgpr read vgpr after write vgpr: 2 wait states
ds_bpermute_b32 v5, v0, v5, offset:16              // permute edge values
s_waitcnt 0                                        // wait for swizzle operation
v_accvgpr_write_b32 acc20, v5                      // 
v_accvgpr_read_b32 v5, acc21                       // glvw 12 mb 1 tt1 9 r 0
s_nop 1                                            // v_accvgpr read vgpr after write vgpr: 2 wait states
ds_bpermute_b32 v5, v0, v5, offset:16              // permute edge values
s_waitcnt 0                                        // wait for swizzle operation
v_accvgpr_write_b32 acc21, v5                      // 
v_accvgpr_read_b32 v5, acc22                       // glvw 12 mb 1 tt1 10 r 0
s_nop 1                                            // v_accvgpr read vgpr after write vgpr: 2 wait states
ds_bpermute_b32 v5, v0, v5, offset:16              // permute edge values
s_waitcnt 0                                        // wait for swizzle operation
v_accvgpr_write_b32 acc22, v5                      // 
v_accvgpr_read_b32 v5, acc23                       // glvw 12 mb 1 tt1 11 r 0
s_nop 1                                            // v_accvgpr read vgpr after write vgpr: 2 wait states
ds_bpermute_b32 v5, v0, v5, offset:16              // permute edge values
s_waitcnt 0                                        // wait for swizzle operation
v_accvgpr_write_b32 acc23, v5                      // 
s_mov_b64 s[32:33], 0xFFFFFFFFFFFFFFFF             // to restore all threads active
s_or_saveexec_b64 vcc, s[32:33]                    // all threads active
s_branch label_0246                                // done shifting


/******************************************/
/* shift d1 r=12 mb=2 vw0                 */
/******************************************/
label_0224: // r12 mb2 vw0 
s_mov_b32 s32, 4                                   // 
_v_cmpx_eq_u32 s[32:33], v4, s32                   // is thread in edge glvw region
v_and_b32 v0, 63, v[vgprSerial]                    // permute register between threads
v_lshlrev_b32 v0, 2, v0                            // permute register between threads
v_accvgpr_read_b32 v5, acc24                       // glvw 12 mb 2 tt1 0 r 0
s_nop 1                                            // v_accvgpr read vgpr after write vgpr: 2 wait states
ds_bpermute_b32 v5, v0, v5, offset:16              // permute edge values
s_waitcnt 0                                        // wait for swizzle operation
v_accvgpr_write_b32 acc24, v5                      // 
v_accvgpr_read_b32 v5, acc25                       // glvw 12 mb 2 tt1 1 r 0
s_nop 1                                            // v_accvgpr read vgpr after write vgpr: 2 wait states
ds_bpermute_b32 v5, v0, v5, offset:16              // permute edge values
s_waitcnt 0                                        // wait for swizzle operation
v_accvgpr_write_b32 acc25, v5                      // 
v_accvgpr_read_b32 v5, acc26                       // glvw 12 mb 2 tt1 2 r 0
s_nop 1                                            // v_accvgpr read vgpr after write vgpr: 2 wait states
ds_bpermute_b32 v5, v0, v5, offset:16              // permute edge values
s_waitcnt 0                                        // wait for swizzle operation
v_accvgpr_write_b32 acc26, v5                      // 
v_accvgpr_read_b32 v5, acc27                       // glvw 12 mb 2 tt1 3 r 0
s_nop 1                                            // v_accvgpr read vgpr after write vgpr: 2 wait states
ds_bpermute_b32 v5, v0, v5, offset:16              // permute edge values
s_waitcnt 0                                        // wait for swizzle operation
v_accvgpr_write_b32 acc27, v5                      // 
v_accvgpr_read_b32 v5, acc28                       // glvw 12 mb 2 tt1 4 r 0
s_nop 1                                            // v_accvgpr read vgpr after write vgpr: 2 wait states
ds_bpermute_b32 v5, v0, v5, offset:16              // permute edge values
s_waitcnt 0                                        // wait for swizzle operation
v_accvgpr_write_b32 acc28, v5                      // 
v_accvgpr_read_b32 v5, acc29                       // glvw 12 mb 2 tt1 5 r 0
s_nop 1                                            // v_accvgpr read vgpr after write vgpr: 2 wait states
ds_bpermute_b32 v5, v0, v5, offset:16              // permute edge values
s_waitcnt 0                                        // wait for swizzle operation
v_accvgpr_write_b32 acc29, v5                      // 
v_accvgpr_read_b32 v5, acc30                       // glvw 12 mb 2 tt1 6 r 0
s_nop 1                                            // v_accvgpr read vgpr after write vgpr: 2 wait states
ds_bpermute_b32 v5, v0, v5, offset:16              // permute edge values
s_waitcnt 0                                        // wait for swizzle operation
v_accvgpr_write_b32 acc30, v5                      // 
v_accvgpr_read_b32 v5, acc31                       // glvw 12 mb 2 tt1 7 r 0
s_nop 1                                            // v_accvgpr read vgpr after write vgpr: 2 wait states
ds_bpermute_b32 v5, v0, v5, offset:16              // permute edge values
s_waitcnt 0                                        // wait for swizzle operation
v_accvgpr_write_b32 acc31, v5                      // 
v_accvgpr_read_b32 v5, acc32                       // glvw 12 mb 2 tt1 8 r 0
s_nop 1                                            // v_accvgpr read vgpr after write vgpr: 2 wait states
ds_bpermute_b32 v5, v0, v5, offset:16              // permute edge values
s_waitcnt 0                                        // wait for swizzle operation
v_accvgpr_write_b32 acc32, v5                      // 
v_accvgpr_read_b32 v5, acc33                       // glvw 12 mb 2 tt1 9 r 0
s_nop 1                                            // v_accvgpr read vgpr after write vgpr: 2 wait states
ds_bpermute_b32 v5, v0, v5, offset:16              // permute edge values
s_waitcnt 0                                        // wait for swizzle operation
v_accvgpr_write_b32 acc33, v5                      // 
v_accvgpr_read_b32 v5, acc34                       // glvw 12 mb 2 tt1 10 r 0
s_nop 1                                            // v_accvgpr read vgpr after write vgpr: 2 wait states
ds_bpermute_b32 v5, v0, v5, offset:16              // permute edge values
s_waitcnt 0                                        // wait for swizzle operation
v_accvgpr_write_b32 acc34, v5                      // 
v_accvgpr_read_b32 v5, acc35                       // glvw 12 mb 2 tt1 11 r 0
s_nop 1                                            // v_accvgpr read vgpr after write vgpr: 2 wait states
ds_bpermute_b32 v5, v0, v5, offset:16              // permute edge values
s_waitcnt 0                                        // wait for swizzle operation
v_accvgpr_write_b32 acc35, v5                      // 
s_mov_b64 s[32:33], 0xFFFFFFFFFFFFFFFF             // to restore all threads active
s_or_saveexec_b64 vcc, s[32:33]                    // all threads active
s_branch label_0246                                // done shifting


/******************************************/
/* shift d1 r=13 mb=0 vw0                 */
/******************************************/
label_0227: // r13 mb0 vw0 
s_mov_b32 s32, 0                                   // 
_v_cmpx_eq_u32 s[32:33], v4, s32                   // is thread in edge glvw region
v_and_b32 v0, 63, v[vgprSerial]                    // permute register between threads
v_lshlrev_b32 v0, 2, v0                            // permute register between threads
v_accvgpr_read_b32 v5, acc0                        // glvw 13 mb 0 tt1 0 r 0
s_nop 1                                            // v_accvgpr read vgpr after write vgpr: 2 wait states
ds_bpermute_b32 v5, v0, v5, offset:12              // permute edge values
s_waitcnt 0                                        // wait for swizzle operation
v_accvgpr_write_b32 acc0, v5                       // 
v_accvgpr_read_b32 v5, acc1                        // glvw 13 mb 0 tt1 1 r 0
s_nop 1                                            // v_accvgpr read vgpr after write vgpr: 2 wait states
ds_bpermute_b32 v5, v0, v5, offset:12              // permute edge values
s_waitcnt 0                                        // wait for swizzle operation
v_accvgpr_write_b32 acc1, v5                       // 
v_accvgpr_read_b32 v5, acc2                        // glvw 13 mb 0 tt1 2 r 0
s_nop 1                                            // v_accvgpr read vgpr after write vgpr: 2 wait states
ds_bpermute_b32 v5, v0, v5, offset:12              // permute edge values
s_waitcnt 0                                        // wait for swizzle operation
v_accvgpr_write_b32 acc2, v5                       // 
v_accvgpr_read_b32 v5, acc3                        // glvw 13 mb 0 tt1 3 r 0
s_nop 1                                            // v_accvgpr read vgpr after write vgpr: 2 wait states
ds_bpermute_b32 v5, v0, v5, offset:12              // permute edge values
s_waitcnt 0                                        // wait for swizzle operation
v_accvgpr_write_b32 acc3, v5                       // 
v_accvgpr_read_b32 v5, acc4                        // glvw 13 mb 0 tt1 4 r 0
s_nop 1                                            // v_accvgpr read vgpr after write vgpr: 2 wait states
ds_bpermute_b32 v5, v0, v5, offset:12              // permute edge values
s_waitcnt 0                                        // wait for swizzle operation
v_accvgpr_write_b32 acc4, v5                       // 
v_accvgpr_read_b32 v5, acc5                        // glvw 13 mb 0 tt1 5 r 0
s_nop 1                                            // v_accvgpr read vgpr after write vgpr: 2 wait states
ds_bpermute_b32 v5, v0, v5, offset:12              // permute edge values
s_waitcnt 0                                        // wait for swizzle operation
v_accvgpr_write_b32 acc5, v5                       // 
v_accvgpr_read_b32 v5, acc6                        // glvw 13 mb 0 tt1 6 r 0
s_nop 1                                            // v_accvgpr read vgpr after write vgpr: 2 wait states
ds_bpermute_b32 v5, v0, v5, offset:12              // permute edge values
s_waitcnt 0                                        // wait for swizzle operation
v_accvgpr_write_b32 acc6, v5                       // 
v_accvgpr_read_b32 v5, acc7                        // glvw 13 mb 0 tt1 7 r 0
s_nop 1                                            // v_accvgpr read vgpr after write vgpr: 2 wait states
ds_bpermute_b32 v5, v0, v5, offset:12              // permute edge values
s_waitcnt 0                                        // wait for swizzle operation
v_accvgpr_write_b32 acc7, v5                       // 
v_accvgpr_read_b32 v5, acc8                        // glvw 13 mb 0 tt1 8 r 0
s_nop 1                                            // v_accvgpr read vgpr after write vgpr: 2 wait states
ds_bpermute_b32 v5, v0, v5, offset:12              // permute edge values
s_waitcnt 0                                        // wait for swizzle operation
v_accvgpr_write_b32 acc8, v5                       // 
v_accvgpr_read_b32 v5, acc9                        // glvw 13 mb 0 tt1 9 r 0
s_nop 1                                            // v_accvgpr read vgpr after write vgpr: 2 wait states
ds_bpermute_b32 v5, v0, v5, offset:12              // permute edge values
s_waitcnt 0                                        // wait for swizzle operation
v_accvgpr_write_b32 acc9, v5                       // 
v_accvgpr_read_b32 v5, acc10                       // glvw 13 mb 0 tt1 10 r 0
s_nop 1                                            // v_accvgpr read vgpr after write vgpr: 2 wait states
ds_bpermute_b32 v5, v0, v5, offset:12              // permute edge values
s_waitcnt 0                                        // wait for swizzle operation
v_accvgpr_write_b32 acc10, v5                      // 
v_accvgpr_read_b32 v5, acc11                       // glvw 13 mb 0 tt1 11 r 0
s_nop 1                                            // v_accvgpr read vgpr after write vgpr: 2 wait states
ds_bpermute_b32 v5, v0, v5, offset:12              // permute edge values
s_waitcnt 0                                        // wait for swizzle operation
v_accvgpr_write_b32 acc11, v5                      // 
s_mov_b64 s[32:33], 0xFFFFFFFFFFFFFFFF             // to restore all threads active
s_or_saveexec_b64 vcc, s[32:33]                    // all threads active
s_branch label_0246                                // done shifting


/******************************************/
/* shift d1 r=13 mb=1 vw0                 */
/******************************************/
label_0229: // r13 mb1 vw0 
s_mov_b32 s32, 2                                   // 
_v_cmpx_eq_u32 s[32:33], v4, s32                   // is thread in edge glvw region
v_and_b32 v0, 63, v[vgprSerial]                    // permute register between threads
v_lshlrev_b32 v0, 2, v0                            // permute register between threads
v_accvgpr_read_b32 v5, acc12                       // glvw 13 mb 1 tt1 0 r 0
s_nop 1                                            // v_accvgpr read vgpr after write vgpr: 2 wait states
ds_bpermute_b32 v5, v0, v5, offset:12              // permute edge values
s_waitcnt 0                                        // wait for swizzle operation
v_accvgpr_write_b32 acc12, v5                      // 
v_accvgpr_read_b32 v5, acc13                       // glvw 13 mb 1 tt1 1 r 0
s_nop 1                                            // v_accvgpr read vgpr after write vgpr: 2 wait states
ds_bpermute_b32 v5, v0, v5, offset:12              // permute edge values
s_waitcnt 0                                        // wait for swizzle operation
v_accvgpr_write_b32 acc13, v5                      // 
v_accvgpr_read_b32 v5, acc14                       // glvw 13 mb 1 tt1 2 r 0
s_nop 1                                            // v_accvgpr read vgpr after write vgpr: 2 wait states
ds_bpermute_b32 v5, v0, v5, offset:12              // permute edge values
s_waitcnt 0                                        // wait for swizzle operation
v_accvgpr_write_b32 acc14, v5                      // 
v_accvgpr_read_b32 v5, acc15                       // glvw 13 mb 1 tt1 3 r 0
s_nop 1                                            // v_accvgpr read vgpr after write vgpr: 2 wait states
ds_bpermute_b32 v5, v0, v5, offset:12              // permute edge values
s_waitcnt 0                                        // wait for swizzle operation
v_accvgpr_write_b32 acc15, v5                      // 
v_accvgpr_read_b32 v5, acc16                       // glvw 13 mb 1 tt1 4 r 0
s_nop 1                                            // v_accvgpr read vgpr after write vgpr: 2 wait states
ds_bpermute_b32 v5, v0, v5, offset:12              // permute edge values
s_waitcnt 0                                        // wait for swizzle operation
v_accvgpr_write_b32 acc16, v5                      // 
v_accvgpr_read_b32 v5, acc17                       // glvw 13 mb 1 tt1 5 r 0
s_nop 1                                            // v_accvgpr read vgpr after write vgpr: 2 wait states
ds_bpermute_b32 v5, v0, v5, offset:12              // permute edge values
s_waitcnt 0                                        // wait for swizzle operation
v_accvgpr_write_b32 acc17, v5                      // 
v_accvgpr_read_b32 v5, acc18                       // glvw 13 mb 1 tt1 6 r 0
s_nop 1                                            // v_accvgpr read vgpr after write vgpr: 2 wait states
ds_bpermute_b32 v5, v0, v5, offset:12              // permute edge values
s_waitcnt 0                                        // wait for swizzle operation
v_accvgpr_write_b32 acc18, v5                      // 
v_accvgpr_read_b32 v5, acc19                       // glvw 13 mb 1 tt1 7 r 0
s_nop 1                                            // v_accvgpr read vgpr after write vgpr: 2 wait states
ds_bpermute_b32 v5, v0, v5, offset:12              // permute edge values
s_waitcnt 0                                        // wait for swizzle operation
v_accvgpr_write_b32 acc19, v5                      // 
v_accvgpr_read_b32 v5, acc20                       // glvw 13 mb 1 tt1 8 r 0
s_nop 1                                            // v_accvgpr read vgpr after write vgpr: 2 wait states
ds_bpermute_b32 v5, v0, v5, offset:12              // permute edge values
s_waitcnt 0                                        // wait for swizzle operation
v_accvgpr_write_b32 acc20, v5                      // 
v_accvgpr_read_b32 v5, acc21                       // glvw 13 mb 1 tt1 9 r 0
s_nop 1                                            // v_accvgpr read vgpr after write vgpr: 2 wait states
ds_bpermute_b32 v5, v0, v5, offset:12              // permute edge values
s_waitcnt 0                                        // wait for swizzle operation
v_accvgpr_write_b32 acc21, v5                      // 
v_accvgpr_read_b32 v5, acc22                       // glvw 13 mb 1 tt1 10 r 0
s_nop 1                                            // v_accvgpr read vgpr after write vgpr: 2 wait states
ds_bpermute_b32 v5, v0, v5, offset:12              // permute edge values
s_waitcnt 0                                        // wait for swizzle operation
v_accvgpr_write_b32 acc22, v5                      // 
v_accvgpr_read_b32 v5, acc23                       // glvw 13 mb 1 tt1 11 r 0
s_nop 1                                            // v_accvgpr read vgpr after write vgpr: 2 wait states
ds_bpermute_b32 v5, v0, v5, offset:12              // permute edge values
s_waitcnt 0                                        // wait for swizzle operation
v_accvgpr_write_b32 acc23, v5                      // 
s_mov_b64 s[32:33], 0xFFFFFFFFFFFFFFFF             // to restore all threads active
s_or_saveexec_b64 vcc, s[32:33]                    // all threads active
s_branch label_0246                                // done shifting


/******************************************/
/* shift d1 r=13 mb=2 vw0                 */
/******************************************/
label_0231: // r13 mb2 vw0 
s_mov_b32 s32, 4                                   // 
_v_cmpx_eq_u32 s[32:33], v4, s32                   // is thread in edge glvw region
v_and_b32 v0, 63, v[vgprSerial]                    // permute register between threads
v_lshlrev_b32 v0, 2, v0                            // permute register between threads
v_accvgpr_read_b32 v5, acc24                       // glvw 13 mb 2 tt1 0 r 0
s_nop 1                                            // v_accvgpr read vgpr after write vgpr: 2 wait states
ds_bpermute_b32 v5, v0, v5, offset:12              // permute edge values
s_waitcnt 0                                        // wait for swizzle operation
v_accvgpr_write_b32 acc24, v5                      // 
v_accvgpr_read_b32 v5, acc25                       // glvw 13 mb 2 tt1 1 r 0
s_nop 1                                            // v_accvgpr read vgpr after write vgpr: 2 wait states
ds_bpermute_b32 v5, v0, v5, offset:12              // permute edge values
s_waitcnt 0                                        // wait for swizzle operation
v_accvgpr_write_b32 acc25, v5                      // 
v_accvgpr_read_b32 v5, acc26                       // glvw 13 mb 2 tt1 2 r 0
s_nop 1                                            // v_accvgpr read vgpr after write vgpr: 2 wait states
ds_bpermute_b32 v5, v0, v5, offset:12              // permute edge values
s_waitcnt 0                                        // wait for swizzle operation
v_accvgpr_write_b32 acc26, v5                      // 
v_accvgpr_read_b32 v5, acc27                       // glvw 13 mb 2 tt1 3 r 0
s_nop 1                                            // v_accvgpr read vgpr after write vgpr: 2 wait states
ds_bpermute_b32 v5, v0, v5, offset:12              // permute edge values
s_waitcnt 0                                        // wait for swizzle operation
v_accvgpr_write_b32 acc27, v5                      // 
v_accvgpr_read_b32 v5, acc28                       // glvw 13 mb 2 tt1 4 r 0
s_nop 1                                            // v_accvgpr read vgpr after write vgpr: 2 wait states
ds_bpermute_b32 v5, v0, v5, offset:12              // permute edge values
s_waitcnt 0                                        // wait for swizzle operation
v_accvgpr_write_b32 acc28, v5                      // 
v_accvgpr_read_b32 v5, acc29                       // glvw 13 mb 2 tt1 5 r 0
s_nop 1                                            // v_accvgpr read vgpr after write vgpr: 2 wait states
ds_bpermute_b32 v5, v0, v5, offset:12              // permute edge values
s_waitcnt 0                                        // wait for swizzle operation
v_accvgpr_write_b32 acc29, v5                      // 
v_accvgpr_read_b32 v5, acc30                       // glvw 13 mb 2 tt1 6 r 0
s_nop 1                                            // v_accvgpr read vgpr after write vgpr: 2 wait states
ds_bpermute_b32 v5, v0, v5, offset:12              // permute edge values
s_waitcnt 0                                        // wait for swizzle operation
v_accvgpr_write_b32 acc30, v5                      // 
v_accvgpr_read_b32 v5, acc31                       // glvw 13 mb 2 tt1 7 r 0
s_nop 1                                            // v_accvgpr read vgpr after write vgpr: 2 wait states
ds_bpermute_b32 v5, v0, v5, offset:12              // permute edge values
s_waitcnt 0                                        // wait for swizzle operation
v_accvgpr_write_b32 acc31, v5                      // 
v_accvgpr_read_b32 v5, acc32                       // glvw 13 mb 2 tt1 8 r 0
s_nop 1                                            // v_accvgpr read vgpr after write vgpr: 2 wait states
ds_bpermute_b32 v5, v0, v5, offset:12              // permute edge values
s_waitcnt 0                                        // wait for swizzle operation
v_accvgpr_write_b32 acc32, v5                      // 
v_accvgpr_read_b32 v5, acc33                       // glvw 13 mb 2 tt1 9 r 0
s_nop 1                                            // v_accvgpr read vgpr after write vgpr: 2 wait states
ds_bpermute_b32 v5, v0, v5, offset:12              // permute edge values
s_waitcnt 0                                        // wait for swizzle operation
v_accvgpr_write_b32 acc33, v5                      // 
v_accvgpr_read_b32 v5, acc34                       // glvw 13 mb 2 tt1 10 r 0
s_nop 1                                            // v_accvgpr read vgpr after write vgpr: 2 wait states
ds_bpermute_b32 v5, v0, v5, offset:12              // permute edge values
s_waitcnt 0                                        // wait for swizzle operation
v_accvgpr_write_b32 acc34, v5                      // 
v_accvgpr_read_b32 v5, acc35                       // glvw 13 mb 2 tt1 11 r 0
s_nop 1                                            // v_accvgpr read vgpr after write vgpr: 2 wait states
ds_bpermute_b32 v5, v0, v5, offset:12              // permute edge values
s_waitcnt 0                                        // wait for swizzle operation
v_accvgpr_write_b32 acc35, v5                      // 
s_mov_b64 s[32:33], 0xFFFFFFFFFFFFFFFF             // to restore all threads active
s_or_saveexec_b64 vcc, s[32:33]                    // all threads active
s_branch label_0246                                // done shifting


/******************************************/
/* shift d1 r=14 mb=0 vw0                 */
/******************************************/
label_0234: // r14 mb0 vw0 
s_mov_b32 s32, 0                                   // 
_v_cmpx_eq_u32 s[32:33], v4, s32                   // is thread in edge glvw region
v_and_b32 v0, 63, v[vgprSerial]                    // permute register between threads
v_lshlrev_b32 v0, 2, v0                            // permute register between threads
v_accvgpr_read_b32 v5, acc0                        // glvw 14 mb 0 tt1 0 r 0
s_nop 1                                            // v_accvgpr read vgpr after write vgpr: 2 wait states
ds_bpermute_b32 v5, v0, v5, offset:8               // permute edge values
s_waitcnt 0                                        // wait for swizzle operation
v_accvgpr_write_b32 acc0, v5                       // 
v_accvgpr_read_b32 v5, acc1                        // glvw 14 mb 0 tt1 1 r 0
s_nop 1                                            // v_accvgpr read vgpr after write vgpr: 2 wait states
ds_bpermute_b32 v5, v0, v5, offset:8               // permute edge values
s_waitcnt 0                                        // wait for swizzle operation
v_accvgpr_write_b32 acc1, v5                       // 
v_accvgpr_read_b32 v5, acc2                        // glvw 14 mb 0 tt1 2 r 0
s_nop 1                                            // v_accvgpr read vgpr after write vgpr: 2 wait states
ds_bpermute_b32 v5, v0, v5, offset:8               // permute edge values
s_waitcnt 0                                        // wait for swizzle operation
v_accvgpr_write_b32 acc2, v5                       // 
v_accvgpr_read_b32 v5, acc3                        // glvw 14 mb 0 tt1 3 r 0
s_nop 1                                            // v_accvgpr read vgpr after write vgpr: 2 wait states
ds_bpermute_b32 v5, v0, v5, offset:8               // permute edge values
s_waitcnt 0                                        // wait for swizzle operation
v_accvgpr_write_b32 acc3, v5                       // 
v_accvgpr_read_b32 v5, acc4                        // glvw 14 mb 0 tt1 4 r 0
s_nop 1                                            // v_accvgpr read vgpr after write vgpr: 2 wait states
ds_bpermute_b32 v5, v0, v5, offset:8               // permute edge values
s_waitcnt 0                                        // wait for swizzle operation
v_accvgpr_write_b32 acc4, v5                       // 
v_accvgpr_read_b32 v5, acc5                        // glvw 14 mb 0 tt1 5 r 0
s_nop 1                                            // v_accvgpr read vgpr after write vgpr: 2 wait states
ds_bpermute_b32 v5, v0, v5, offset:8               // permute edge values
s_waitcnt 0                                        // wait for swizzle operation
v_accvgpr_write_b32 acc5, v5                       // 
v_accvgpr_read_b32 v5, acc6                        // glvw 14 mb 0 tt1 6 r 0
s_nop 1                                            // v_accvgpr read vgpr after write vgpr: 2 wait states
ds_bpermute_b32 v5, v0, v5, offset:8               // permute edge values
s_waitcnt 0                                        // wait for swizzle operation
v_accvgpr_write_b32 acc6, v5                       // 
v_accvgpr_read_b32 v5, acc7                        // glvw 14 mb 0 tt1 7 r 0
s_nop 1                                            // v_accvgpr read vgpr after write vgpr: 2 wait states
ds_bpermute_b32 v5, v0, v5, offset:8               // permute edge values
s_waitcnt 0                                        // wait for swizzle operation
v_accvgpr_write_b32 acc7, v5                       // 
v_accvgpr_read_b32 v5, acc8                        // glvw 14 mb 0 tt1 8 r 0
s_nop 1                                            // v_accvgpr read vgpr after write vgpr: 2 wait states
ds_bpermute_b32 v5, v0, v5, offset:8               // permute edge values
s_waitcnt 0                                        // wait for swizzle operation
v_accvgpr_write_b32 acc8, v5                       // 
v_accvgpr_read_b32 v5, acc9                        // glvw 14 mb 0 tt1 9 r 0
s_nop 1                                            // v_accvgpr read vgpr after write vgpr: 2 wait states
ds_bpermute_b32 v5, v0, v5, offset:8               // permute edge values
s_waitcnt 0                                        // wait for swizzle operation
v_accvgpr_write_b32 acc9, v5                       // 
v_accvgpr_read_b32 v5, acc10                       // glvw 14 mb 0 tt1 10 r 0
s_nop 1                                            // v_accvgpr read vgpr after write vgpr: 2 wait states
ds_bpermute_b32 v5, v0, v5, offset:8               // permute edge values
s_waitcnt 0                                        // wait for swizzle operation
v_accvgpr_write_b32 acc10, v5                      // 
v_accvgpr_read_b32 v5, acc11                       // glvw 14 mb 0 tt1 11 r 0
s_nop 1                                            // v_accvgpr read vgpr after write vgpr: 2 wait states
ds_bpermute_b32 v5, v0, v5, offset:8               // permute edge values
s_waitcnt 0                                        // wait for swizzle operation
v_accvgpr_write_b32 acc11, v5                      // 
s_mov_b64 s[32:33], 0xFFFFFFFFFFFFFFFF             // to restore all threads active
s_or_saveexec_b64 vcc, s[32:33]                    // all threads active
s_branch label_0246                                // done shifting


/******************************************/
/* shift d1 r=14 mb=1 vw0                 */
/******************************************/
label_0236: // r14 mb1 vw0 
s_mov_b32 s32, 2                                   // 
_v_cmpx_eq_u32 s[32:33], v4, s32                   // is thread in edge glvw region
v_and_b32 v0, 63, v[vgprSerial]                    // permute register between threads
v_lshlrev_b32 v0, 2, v0                            // permute register between threads
v_accvgpr_read_b32 v5, acc12                       // glvw 14 mb 1 tt1 0 r 0
s_nop 1                                            // v_accvgpr read vgpr after write vgpr: 2 wait states
ds_bpermute_b32 v5, v0, v5, offset:8               // permute edge values
s_waitcnt 0                                        // wait for swizzle operation
v_accvgpr_write_b32 acc12, v5                      // 
v_accvgpr_read_b32 v5, acc13                       // glvw 14 mb 1 tt1 1 r 0
s_nop 1                                            // v_accvgpr read vgpr after write vgpr: 2 wait states
ds_bpermute_b32 v5, v0, v5, offset:8               // permute edge values
s_waitcnt 0                                        // wait for swizzle operation
v_accvgpr_write_b32 acc13, v5                      // 
v_accvgpr_read_b32 v5, acc14                       // glvw 14 mb 1 tt1 2 r 0
s_nop 1                                            // v_accvgpr read vgpr after write vgpr: 2 wait states
ds_bpermute_b32 v5, v0, v5, offset:8               // permute edge values
s_waitcnt 0                                        // wait for swizzle operation
v_accvgpr_write_b32 acc14, v5                      // 
v_accvgpr_read_b32 v5, acc15                       // glvw 14 mb 1 tt1 3 r 0
s_nop 1                                            // v_accvgpr read vgpr after write vgpr: 2 wait states
ds_bpermute_b32 v5, v0, v5, offset:8               // permute edge values
s_waitcnt 0                                        // wait for swizzle operation
v_accvgpr_write_b32 acc15, v5                      // 
v_accvgpr_read_b32 v5, acc16                       // glvw 14 mb 1 tt1 4 r 0
s_nop 1                                            // v_accvgpr read vgpr after write vgpr: 2 wait states
ds_bpermute_b32 v5, v0, v5, offset:8               // permute edge values
s_waitcnt 0                                        // wait for swizzle operation
v_accvgpr_write_b32 acc16, v5                      // 
v_accvgpr_read_b32 v5, acc17                       // glvw 14 mb 1 tt1 5 r 0
s_nop 1                                            // v_accvgpr read vgpr after write vgpr: 2 wait states
ds_bpermute_b32 v5, v0, v5, offset:8               // permute edge values
s_waitcnt 0                                        // wait for swizzle operation
v_accvgpr_write_b32 acc17, v5                      // 
v_accvgpr_read_b32 v5, acc18                       // glvw 14 mb 1 tt1 6 r 0
s_nop 1                                            // v_accvgpr read vgpr after write vgpr: 2 wait states
ds_bpermute_b32 v5, v0, v5, offset:8               // permute edge values
s_waitcnt 0                                        // wait for swizzle operation
v_accvgpr_write_b32 acc18, v5                      // 
v_accvgpr_read_b32 v5, acc19                       // glvw 14 mb 1 tt1 7 r 0
s_nop 1                                            // v_accvgpr read vgpr after write vgpr: 2 wait states
ds_bpermute_b32 v5, v0, v5, offset:8               // permute edge values
s_waitcnt 0                                        // wait for swizzle operation
v_accvgpr_write_b32 acc19, v5                      // 
v_accvgpr_read_b32 v5, acc20                       // glvw 14 mb 1 tt1 8 r 0
s_nop 1                                            // v_accvgpr read vgpr after write vgpr: 2 wait states
ds_bpermute_b32 v5, v0, v5, offset:8               // permute edge values
s_waitcnt 0                                        // wait for swizzle operation
v_accvgpr_write_b32 acc20, v5                      // 
v_accvgpr_read_b32 v5, acc21                       // glvw 14 mb 1 tt1 9 r 0
s_nop 1                                            // v_accvgpr read vgpr after write vgpr: 2 wait states
ds_bpermute_b32 v5, v0, v5, offset:8               // permute edge values
s_waitcnt 0                                        // wait for swizzle operation
v_accvgpr_write_b32 acc21, v5                      // 
v_accvgpr_read_b32 v5, acc22                       // glvw 14 mb 1 tt1 10 r 0
s_nop 1                                            // v_accvgpr read vgpr after write vgpr: 2 wait states
ds_bpermute_b32 v5, v0, v5, offset:8               // permute edge values
s_waitcnt 0                                        // wait for swizzle operation
v_accvgpr_write_b32 acc22, v5                      // 
v_accvgpr_read_b32 v5, acc23                       // glvw 14 mb 1 tt1 11 r 0
s_nop 1                                            // v_accvgpr read vgpr after write vgpr: 2 wait states
ds_bpermute_b32 v5, v0, v5, offset:8               // permute edge values
s_waitcnt 0                                        // wait for swizzle operation
v_accvgpr_write_b32 acc23, v5                      // 
s_mov_b64 s[32:33], 0xFFFFFFFFFFFFFFFF             // to restore all threads active
s_or_saveexec_b64 vcc, s[32:33]                    // all threads active
s_branch label_0246                                // done shifting


/******************************************/
/* shift d1 r=14 mb=2 vw0                 */
/******************************************/
label_0238: // r14 mb2 vw0 
s_mov_b32 s32, 4                                   // 
_v_cmpx_eq_u32 s[32:33], v4, s32                   // is thread in edge glvw region
v_and_b32 v0, 63, v[vgprSerial]                    // permute register between threads
v_lshlrev_b32 v0, 2, v0                            // permute register between threads
v_accvgpr_read_b32 v5, acc24                       // glvw 14 mb 2 tt1 0 r 0
s_nop 1                                            // v_accvgpr read vgpr after write vgpr: 2 wait states
ds_bpermute_b32 v5, v0, v5, offset:8               // permute edge values
s_waitcnt 0                                        // wait for swizzle operation
v_accvgpr_write_b32 acc24, v5                      // 
v_accvgpr_read_b32 v5, acc25                       // glvw 14 mb 2 tt1 1 r 0
s_nop 1                                            // v_accvgpr read vgpr after write vgpr: 2 wait states
ds_bpermute_b32 v5, v0, v5, offset:8               // permute edge values
s_waitcnt 0                                        // wait for swizzle operation
v_accvgpr_write_b32 acc25, v5                      // 
v_accvgpr_read_b32 v5, acc26                       // glvw 14 mb 2 tt1 2 r 0
s_nop 1                                            // v_accvgpr read vgpr after write vgpr: 2 wait states
ds_bpermute_b32 v5, v0, v5, offset:8               // permute edge values
s_waitcnt 0                                        // wait for swizzle operation
v_accvgpr_write_b32 acc26, v5                      // 
v_accvgpr_read_b32 v5, acc27                       // glvw 14 mb 2 tt1 3 r 0
s_nop 1                                            // v_accvgpr read vgpr after write vgpr: 2 wait states
ds_bpermute_b32 v5, v0, v5, offset:8               // permute edge values
s_waitcnt 0                                        // wait for swizzle operation
v_accvgpr_write_b32 acc27, v5                      // 
v_accvgpr_read_b32 v5, acc28                       // glvw 14 mb 2 tt1 4 r 0
s_nop 1                                            // v_accvgpr read vgpr after write vgpr: 2 wait states
ds_bpermute_b32 v5, v0, v5, offset:8               // permute edge values
s_waitcnt 0                                        // wait for swizzle operation
v_accvgpr_write_b32 acc28, v5                      // 
v_accvgpr_read_b32 v5, acc29                       // glvw 14 mb 2 tt1 5 r 0
s_nop 1                                            // v_accvgpr read vgpr after write vgpr: 2 wait states
ds_bpermute_b32 v5, v0, v5, offset:8               // permute edge values
s_waitcnt 0                                        // wait for swizzle operation
v_accvgpr_write_b32 acc29, v5                      // 
v_accvgpr_read_b32 v5, acc30                       // glvw 14 mb 2 tt1 6 r 0
s_nop 1                                            // v_accvgpr read vgpr after write vgpr: 2 wait states
ds_bpermute_b32 v5, v0, v5, offset:8               // permute edge values
s_waitcnt 0                                        // wait for swizzle operation
v_accvgpr_write_b32 acc30, v5                      // 
v_accvgpr_read_b32 v5, acc31                       // glvw 14 mb 2 tt1 7 r 0
s_nop 1                                            // v_accvgpr read vgpr after write vgpr: 2 wait states
ds_bpermute_b32 v5, v0, v5, offset:8               // permute edge values
s_waitcnt 0                                        // wait for swizzle operation
v_accvgpr_write_b32 acc31, v5                      // 
v_accvgpr_read_b32 v5, acc32                       // glvw 14 mb 2 tt1 8 r 0
s_nop 1                                            // v_accvgpr read vgpr after write vgpr: 2 wait states
ds_bpermute_b32 v5, v0, v5, offset:8               // permute edge values
s_waitcnt 0                                        // wait for swizzle operation
v_accvgpr_write_b32 acc32, v5                      // 
v_accvgpr_read_b32 v5, acc33                       // glvw 14 mb 2 tt1 9 r 0
s_nop 1                                            // v_accvgpr read vgpr after write vgpr: 2 wait states
ds_bpermute_b32 v5, v0, v5, offset:8               // permute edge values
s_waitcnt 0                                        // wait for swizzle operation
v_accvgpr_write_b32 acc33, v5                      // 
v_accvgpr_read_b32 v5, acc34                       // glvw 14 mb 2 tt1 10 r 0
s_nop 1                                            // v_accvgpr read vgpr after write vgpr: 2 wait states
ds_bpermute_b32 v5, v0, v5, offset:8               // permute edge values
s_waitcnt 0                                        // wait for swizzle operation
v_accvgpr_write_b32 acc34, v5                      // 
v_accvgpr_read_b32 v5, acc35                       // glvw 14 mb 2 tt1 11 r 0
s_nop 1                                            // v_accvgpr read vgpr after write vgpr: 2 wait states
ds_bpermute_b32 v5, v0, v5, offset:8               // permute edge values
s_waitcnt 0                                        // wait for swizzle operation
v_accvgpr_write_b32 acc35, v5                      // 
s_mov_b64 s[32:33], 0xFFFFFFFFFFFFFFFF             // to restore all threads active
s_or_saveexec_b64 vcc, s[32:33]                    // all threads active
s_branch label_0246                                // done shifting


/******************************************/
/* shift d1 r=15 mb=0 vw0                 */
/******************************************/
label_0241: // r15 mb0 vw0 
s_mov_b32 s32, 0                                   // 
_v_cmpx_eq_u32 s[32:33], v4, s32                   // is thread in edge glvw region
v_and_b32 v0, 63, v[vgprSerial]                    // permute register between threads
v_lshlrev_b32 v0, 2, v0                            // permute register between threads
v_accvgpr_read_b32 v5, acc0                        // glvw 15 mb 0 tt1 0 r 0
s_nop 1                                            // v_accvgpr read vgpr after write vgpr: 2 wait states
ds_bpermute_b32 v5, v0, v5, offset:4               // permute edge values
s_waitcnt 0                                        // wait for swizzle operation
v_accvgpr_write_b32 acc0, v5                       // 
v_accvgpr_read_b32 v5, acc1                        // glvw 15 mb 0 tt1 1 r 0
s_nop 1                                            // v_accvgpr read vgpr after write vgpr: 2 wait states
ds_bpermute_b32 v5, v0, v5, offset:4               // permute edge values
s_waitcnt 0                                        // wait for swizzle operation
v_accvgpr_write_b32 acc1, v5                       // 
v_accvgpr_read_b32 v5, acc2                        // glvw 15 mb 0 tt1 2 r 0
s_nop 1                                            // v_accvgpr read vgpr after write vgpr: 2 wait states
ds_bpermute_b32 v5, v0, v5, offset:4               // permute edge values
s_waitcnt 0                                        // wait for swizzle operation
v_accvgpr_write_b32 acc2, v5                       // 
v_accvgpr_read_b32 v5, acc3                        // glvw 15 mb 0 tt1 3 r 0
s_nop 1                                            // v_accvgpr read vgpr after write vgpr: 2 wait states
ds_bpermute_b32 v5, v0, v5, offset:4               // permute edge values
s_waitcnt 0                                        // wait for swizzle operation
v_accvgpr_write_b32 acc3, v5                       // 
v_accvgpr_read_b32 v5, acc4                        // glvw 15 mb 0 tt1 4 r 0
s_nop 1                                            // v_accvgpr read vgpr after write vgpr: 2 wait states
ds_bpermute_b32 v5, v0, v5, offset:4               // permute edge values
s_waitcnt 0                                        // wait for swizzle operation
v_accvgpr_write_b32 acc4, v5                       // 
v_accvgpr_read_b32 v5, acc5                        // glvw 15 mb 0 tt1 5 r 0
s_nop 1                                            // v_accvgpr read vgpr after write vgpr: 2 wait states
ds_bpermute_b32 v5, v0, v5, offset:4               // permute edge values
s_waitcnt 0                                        // wait for swizzle operation
v_accvgpr_write_b32 acc5, v5                       // 
v_accvgpr_read_b32 v5, acc6                        // glvw 15 mb 0 tt1 6 r 0
s_nop 1                                            // v_accvgpr read vgpr after write vgpr: 2 wait states
ds_bpermute_b32 v5, v0, v5, offset:4               // permute edge values
s_waitcnt 0                                        // wait for swizzle operation
v_accvgpr_write_b32 acc6, v5                       // 
v_accvgpr_read_b32 v5, acc7                        // glvw 15 mb 0 tt1 7 r 0
s_nop 1                                            // v_accvgpr read vgpr after write vgpr: 2 wait states
ds_bpermute_b32 v5, v0, v5, offset:4               // permute edge values
s_waitcnt 0                                        // wait for swizzle operation
v_accvgpr_write_b32 acc7, v5                       // 
v_accvgpr_read_b32 v5, acc8                        // glvw 15 mb 0 tt1 8 r 0
s_nop 1                                            // v_accvgpr read vgpr after write vgpr: 2 wait states
ds_bpermute_b32 v5, v0, v5, offset:4               // permute edge values
s_waitcnt 0                                        // wait for swizzle operation
v_accvgpr_write_b32 acc8, v5                       // 
v_accvgpr_read_b32 v5, acc9                        // glvw 15 mb 0 tt1 9 r 0
s_nop 1                                            // v_accvgpr read vgpr after write vgpr: 2 wait states
ds_bpermute_b32 v5, v0, v5, offset:4               // permute edge values
s_waitcnt 0                                        // wait for swizzle operation
v_accvgpr_write_b32 acc9, v5                       // 
v_accvgpr_read_b32 v5, acc10                       // glvw 15 mb 0 tt1 10 r 0
s_nop 1                                            // v_accvgpr read vgpr after write vgpr: 2 wait states
ds_bpermute_b32 v5, v0, v5, offset:4               // permute edge values
s_waitcnt 0                                        // wait for swizzle operation
v_accvgpr_write_b32 acc10, v5                      // 
v_accvgpr_read_b32 v5, acc11                       // glvw 15 mb 0 tt1 11 r 0
s_nop 1                                            // v_accvgpr read vgpr after write vgpr: 2 wait states
ds_bpermute_b32 v5, v0, v5, offset:4               // permute edge values
s_waitcnt 0                                        // wait for swizzle operation
v_accvgpr_write_b32 acc11, v5                      // 
s_mov_b64 s[32:33], 0xFFFFFFFFFFFFFFFF             // to restore all threads active
s_or_saveexec_b64 vcc, s[32:33]                    // all threads active
s_branch label_0246                                // done shifting


/******************************************/
/* shift d1 r=15 mb=1 vw0                 */
/******************************************/
label_0243: // r15 mb1 vw0 
s_mov_b32 s32, 2                                   // 
_v_cmpx_eq_u32 s[32:33], v4, s32                   // is thread in edge glvw region
v_and_b32 v0, 63, v[vgprSerial]                    // permute register between threads
v_lshlrev_b32 v0, 2, v0                            // permute register between threads
v_accvgpr_read_b32 v5, acc12                       // glvw 15 mb 1 tt1 0 r 0
s_nop 1                                            // v_accvgpr read vgpr after write vgpr: 2 wait states
ds_bpermute_b32 v5, v0, v5, offset:4               // permute edge values
s_waitcnt 0                                        // wait for swizzle operation
v_accvgpr_write_b32 acc12, v5                      // 
v_accvgpr_read_b32 v5, acc13                       // glvw 15 mb 1 tt1 1 r 0
s_nop 1                                            // v_accvgpr read vgpr after write vgpr: 2 wait states
ds_bpermute_b32 v5, v0, v5, offset:4               // permute edge values
s_waitcnt 0                                        // wait for swizzle operation
v_accvgpr_write_b32 acc13, v5                      // 
v_accvgpr_read_b32 v5, acc14                       // glvw 15 mb 1 tt1 2 r 0
s_nop 1                                            // v_accvgpr read vgpr after write vgpr: 2 wait states
ds_bpermute_b32 v5, v0, v5, offset:4               // permute edge values
s_waitcnt 0                                        // wait for swizzle operation
v_accvgpr_write_b32 acc14, v5                      // 
v_accvgpr_read_b32 v5, acc15                       // glvw 15 mb 1 tt1 3 r 0
s_nop 1                                            // v_accvgpr read vgpr after write vgpr: 2 wait states
ds_bpermute_b32 v5, v0, v5, offset:4               // permute edge values
s_waitcnt 0                                        // wait for swizzle operation
v_accvgpr_write_b32 acc15, v5                      // 
v_accvgpr_read_b32 v5, acc16                       // glvw 15 mb 1 tt1 4 r 0
s_nop 1                                            // v_accvgpr read vgpr after write vgpr: 2 wait states
ds_bpermute_b32 v5, v0, v5, offset:4               // permute edge values
s_waitcnt 0                                        // wait for swizzle operation
v_accvgpr_write_b32 acc16, v5                      // 
v_accvgpr_read_b32 v5, acc17                       // glvw 15 mb 1 tt1 5 r 0
s_nop 1                                            // v_accvgpr read vgpr after write vgpr: 2 wait states
ds_bpermute_b32 v5, v0, v5, offset:4               // permute edge values
s_waitcnt 0                                        // wait for swizzle operation
v_accvgpr_write_b32 acc17, v5                      // 
v_accvgpr_read_b32 v5, acc18                       // glvw 15 mb 1 tt1 6 r 0
s_nop 1                                            // v_accvgpr read vgpr after write vgpr: 2 wait states
ds_bpermute_b32 v5, v0, v5, offset:4               // permute edge values
s_waitcnt 0                                        // wait for swizzle operation
v_accvgpr_write_b32 acc18, v5                      // 
v_accvgpr_read_b32 v5, acc19                       // glvw 15 mb 1 tt1 7 r 0
s_nop 1                                            // v_accvgpr read vgpr after write vgpr: 2 wait states
ds_bpermute_b32 v5, v0, v5, offset:4               // permute edge values
s_waitcnt 0                                        // wait for swizzle operation
v_accvgpr_write_b32 acc19, v5                      // 
v_accvgpr_read_b32 v5, acc20                       // glvw 15 mb 1 tt1 8 r 0
s_nop 1                                            // v_accvgpr read vgpr after write vgpr: 2 wait states
ds_bpermute_b32 v5, v0, v5, offset:4               // permute edge values
s_waitcnt 0                                        // wait for swizzle operation
v_accvgpr_write_b32 acc20, v5                      // 
v_accvgpr_read_b32 v5, acc21                       // glvw 15 mb 1 tt1 9 r 0
s_nop 1                                            // v_accvgpr read vgpr after write vgpr: 2 wait states
ds_bpermute_b32 v5, v0, v5, offset:4               // permute edge values
s_waitcnt 0                                        // wait for swizzle operation
v_accvgpr_write_b32 acc21, v5                      // 
v_accvgpr_read_b32 v5, acc22                       // glvw 15 mb 1 tt1 10 r 0
s_nop 1                                            // v_accvgpr read vgpr after write vgpr: 2 wait states
ds_bpermute_b32 v5, v0, v5, offset:4               // permute edge values
s_waitcnt 0                                        // wait for swizzle operation
v_accvgpr_write_b32 acc22, v5                      // 
v_accvgpr_read_b32 v5, acc23                       // glvw 15 mb 1 tt1 11 r 0
s_nop 1                                            // v_accvgpr read vgpr after write vgpr: 2 wait states
ds_bpermute_b32 v5, v0, v5, offset:4               // permute edge values
s_waitcnt 0                                        // wait for swizzle operation
v_accvgpr_write_b32 acc23, v5                      // 
s_mov_b64 s[32:33], 0xFFFFFFFFFFFFFFFF             // to restore all threads active
s_or_saveexec_b64 vcc, s[32:33]                    // all threads active
s_branch label_0246                                // done shifting


/******************************************/
/* shift d1 r=15 mb=2 vw0                 */
/******************************************/
label_0245: // r15 mb2 vw0 
s_mov_b32 s32, 4                                   // 
_v_cmpx_eq_u32 s[32:33], v4, s32                   // is thread in edge glvw region
v_and_b32 v0, 63, v[vgprSerial]                    // permute register between threads
v_lshlrev_b32 v0, 2, v0                            // permute register between threads
v_accvgpr_read_b32 v5, acc24                       // glvw 15 mb 2 tt1 0 r 0
s_nop 1                                            // v_accvgpr read vgpr after write vgpr: 2 wait states
ds_bpermute_b32 v5, v0, v5, offset:4               // permute edge values
s_waitcnt 0                                        // wait for swizzle operation
v_accvgpr_write_b32 acc24, v5                      // 
v_accvgpr_read_b32 v5, acc25                       // glvw 15 mb 2 tt1 1 r 0
s_nop 1                                            // v_accvgpr read vgpr after write vgpr: 2 wait states
ds_bpermute_b32 v5, v0, v5, offset:4               // permute edge values
s_waitcnt 0                                        // wait for swizzle operation
v_accvgpr_write_b32 acc25, v5                      // 
v_accvgpr_read_b32 v5, acc26                       // glvw 15 mb 2 tt1 2 r 0
s_nop 1                                            // v_accvgpr read vgpr after write vgpr: 2 wait states
ds_bpermute_b32 v5, v0, v5, offset:4               // permute edge values
s_waitcnt 0                                        // wait for swizzle operation
v_accvgpr_write_b32 acc26, v5                      // 
v_accvgpr_read_b32 v5, acc27                       // glvw 15 mb 2 tt1 3 r 0
s_nop 1                                            // v_accvgpr read vgpr after write vgpr: 2 wait states
ds_bpermute_b32 v5, v0, v5, offset:4               // permute edge values
s_waitcnt 0                                        // wait for swizzle operation
v_accvgpr_write_b32 acc27, v5                      // 
v_accvgpr_read_b32 v5, acc28                       // glvw 15 mb 2 tt1 4 r 0
s_nop 1                                            // v_accvgpr read vgpr after write vgpr: 2 wait states
ds_bpermute_b32 v5, v0, v5, offset:4               // permute edge values
s_waitcnt 0                                        // wait for swizzle operation
v_accvgpr_write_b32 acc28, v5                      // 
v_accvgpr_read_b32 v5, acc29                       // glvw 15 mb 2 tt1 5 r 0
s_nop 1                                            // v_accvgpr read vgpr after write vgpr: 2 wait states
ds_bpermute_b32 v5, v0, v5, offset:4               // permute edge values
s_waitcnt 0                                        // wait for swizzle operation
v_accvgpr_write_b32 acc29, v5                      // 
v_accvgpr_read_b32 v5, acc30                       // glvw 15 mb 2 tt1 6 r 0
s_nop 1                                            // v_accvgpr read vgpr after write vgpr: 2 wait states
ds_bpermute_b32 v5, v0, v5, offset:4               // permute edge values
s_waitcnt 0                                        // wait for swizzle operation
v_accvgpr_write_b32 acc30, v5                      // 
v_accvgpr_read_b32 v5, acc31                       // glvw 15 mb 2 tt1 7 r 0
s_nop 1                                            // v_accvgpr read vgpr after write vgpr: 2 wait states
ds_bpermute_b32 v5, v0, v5, offset:4               // permute edge values
s_waitcnt 0                                        // wait for swizzle operation
v_accvgpr_write_b32 acc31, v5                      // 
v_accvgpr_read_b32 v5, acc32                       // glvw 15 mb 2 tt1 8 r 0
s_nop 1                                            // v_accvgpr read vgpr after write vgpr: 2 wait states
ds_bpermute_b32 v5, v0, v5, offset:4               // permute edge values
s_waitcnt 0                                        // wait for swizzle operation
v_accvgpr_write_b32 acc32, v5                      // 
v_accvgpr_read_b32 v5, acc33                       // glvw 15 mb 2 tt1 9 r 0
s_nop 1                                            // v_accvgpr read vgpr after write vgpr: 2 wait states
ds_bpermute_b32 v5, v0, v5, offset:4               // permute edge values
s_waitcnt 0                                        // wait for swizzle operation
v_accvgpr_write_b32 acc33, v5                      // 
v_accvgpr_read_b32 v5, acc34                       // glvw 15 mb 2 tt1 10 r 0
s_nop 1                                            // v_accvgpr read vgpr after write vgpr: 2 wait states
ds_bpermute_b32 v5, v0, v5, offset:4               // permute edge values
s_waitcnt 0                                        // wait for swizzle operation
v_accvgpr_write_b32 acc34, v5                      // 
v_accvgpr_read_b32 v5, acc35                       // glvw 15 mb 2 tt1 11 r 0
s_nop 1                                            // v_accvgpr read vgpr after write vgpr: 2 wait states
ds_bpermute_b32 v5, v0, v5, offset:4               // permute edge values
s_waitcnt 0                                        // wait for swizzle operation
v_accvgpr_write_b32 acc35, v5                      // 
s_mov_b64 s[32:33], 0xFFFFFFFFFFFFFFFF             // to restore all threads active
s_or_saveexec_b64 vcc, s[32:33]                    // all threads active
s_branch label_0246                                // done shifting

label_0246: // end shift0


	;; [unrolled: 1-line block ×3, first 2 shown]
/* not-LocalSplitU: global write indices */

/* computeStoreVgprs */
v_lshrrev_b32 v4, 6, v[vgprSerial]                 // v4 = v[vgprSerial] / 64
v_lshrrev_b32 v1, 1, v4                            // v1 = v4 / 2
v_mul_lo_u32 v1, 0x10, v1                          // wave coordination offset 1
v_and_b32 v5, 15, v[vgprSerial]                    // v5 = v[vgprSerial] % 16
_v_add_lshl_u32 v1, v5, v1, 0                      // coordination 1 = vwb *(wave_id1 + tid1)
v_mul_lo_u32 v2, v1, s[sgprStrideC1J]              //  offset 1
v_mul_lo_u32 v3, v1, s[sgprStrideD1J]              //  offset 1
v_and_b32 v0, 63, v[vgprSerial]                    // v0 = v[vgprSerial] % 64
v_lshrrev_b32 v0, 4, v0                            // v0 = v0 / 16
v_lshlrev_b32 v0, 0x2, v0                          // thread0 * continuous_output
v_and_b32 v5, 1, v4                                // v5 = v4 % 2
v_mul_lo_u32 v5, 0x10, v5                          // wave coordination offset 0
_v_add_lshl_u32 v0, v5, v0, 0                      // coordination 0 = vwa *(wave_id0 + tid0)
s_mul_i32 s31, 96, s[sgprWorkGroup0]               // wgp0 * MT0
_v_add_u32 v0, s31, v0                             // coord 0 = (tid0/MI_m)*4 + waveG0*MIB_m + MT0*SG0
s_mul_i32 s31, 96, s[sgprWorkGroup1]               // wgp1 * MT1
_v_add_u32 v1, s31, v1                             // coord 1 = (tid0%MI_m) + waveG1*MIB_n + MT1*SG1


/* not-LocalSplitU: global write */

s_cmpk_eq_u32 s[sgprBeta], 0x0                     // Beta == 0
s_cbranch_scc0 GW_Beta_267                         // Branch if Beta is not zero

s_mov_b32 s35, 0x0                                 // STATIC_DIV: divisior=96
s_mul_i32 s34, 0x555, s[sgprSizeI]                 // tmp1 = dividend * magic hi
s_lshl_b64 s[34:35], s[34:35], 0x10                // left shift 16 bits
s_mul_i32 s33, s[sgprSizeI], 0x5556                // tmp0 = dividend * magic lo
s_add_u32 s34, s33, s34                            // add lo
s_addc_u32 s35, s35, 0x0                           // add hi
s_lshr_b64 s[34:35], s[34:35], 0x21                // tmp1 = (dividend * magic) << shift
s_mov_b32 s33, s34                                 // quotient
s_mul_i32 s34, s33, 0x60                           // quotient*divisor
s_sub_u32 s32, s[sgprSizeI], s34                   // rReg = dividend - quotient*divisor
s_add_u32 s33, -0x1, s[sgprNumWorkGroups0]         // 
s_cmp_ge_u32 s[sgprWorkGroup0], s33                // wg0 >= nwg0-1 ?
s_cselect_b32 s32, s32, 0                          // set rMT0
s_cmpk_gt_u32 s32, 0x0                             // rMT0 > 0
s_cbranch_scc1 GW_B0_E1_258                        // jump if edges required
s_mov_b32 s35, 0x0                                 // STATIC_DIV: divisior=96
s_mul_i32 s34, 0x555, s[sgprSizeJ]                 // tmp1 = dividend * magic hi
s_lshl_b64 s[34:35], s[34:35], 0x10                // left shift 16 bits
s_mul_i32 s33, s[sgprSizeJ], 0x5556                // tmp0 = dividend * magic lo
s_add_u32 s34, s33, s34                            // add lo
s_addc_u32 s35, s35, 0x0                           // add hi
s_lshr_b64 s[34:35], s[34:35], 0x21                // tmp1 = (dividend * magic) << shift
s_mov_b32 s33, s34                                 // quotient
s_mul_i32 s34, s33, 0x60                           // quotient*divisor
s_sub_u32 s32, s[sgprSizeJ], s34                   // rReg = dividend - quotient*divisor
s_add_u32 s33, -0x1, s[sgprNumWorkGroups1]         // 
s_cmp_ge_u32 s[sgprWorkGroup1], s33                // wg1 >= nwg1-1
s_cselect_b32 s32, s32, 0                          // set rMT1
s_cmpk_gt_u32 s32, 0x0                             // rMT1 > 0
s_cbranch_scc1 GW_B0_E1_258                        // jump if edges required
GW_B0_E0_255:

/* edge=0, allocate 2 sgpr. perBatchTmpS=2 perBatchMaskS=0 perElementMaskS=0 elementsPerBatch=61 */
/* optSingleColVgpr=1 optSharedColVgpr=0 optSGPRUsage=BufferLoad_Mask optSrdIncForRow=1 */

/******************************************/
/* Global Write Alpha Batch #0 (d1,d0,vc1,vc0) = */
/*    (0,0,0,0:vw4); (0,1,0,0:vw4); (0,2,0,0:vw4); (1,0,0,0:vw4); (1,1,0,0:vw4); (1,2,0,0:vw4); (2,0,0,0:vw4); (2,1,0,0:vw4); (2,2,0,0:vw4) */
/******************************************/

/* calc coords, apply mask, and issue loads (if necessary) */
/* (d1,vc1,d0,vc0)=(0,0,0,0) */
/* (d1,vc1,d0,vc0)=(0,0,1,0) */
	;; [unrolled: 1-line block ×9, first 2 shown]
_v_add_lshl_u32 v6, v3, v0, 0x2                    // optSingleColVgpr scaleToBpe: sharedAddrVgpr <- cinRowPtr + coord0, scaled by BPE. BSHERE:coord0=0, coord0Vgpr=0
v_accvgpr_read_b32 v[vgprValuC+8], acc0 // copy acc to vreg[0]
v_accvgpr_read_b32 v[vgprValuC+9], acc1 // copy acc to vreg[1]
v_accvgpr_read_b32 v[vgprValuC+10], acc2 // copy acc to vreg[2]
v_accvgpr_read_b32 v[vgprValuC+11], acc3 // copy acc to vreg[3]
v_accvgpr_read_b32 v[vgprValuC+12], acc4 // copy acc to vreg[4]
v_accvgpr_read_b32 v[vgprValuC+13], acc5 // copy acc to vreg[5]
v_accvgpr_read_b32 v[vgprValuC+14], acc6 // copy acc to vreg[6]
v_accvgpr_read_b32 v[vgprValuC+15], acc7 // copy acc to vreg[7]
v_accvgpr_read_b32 v[vgprValuC+16], acc8 // copy acc to vreg[8]
v_accvgpr_read_b32 v[vgprValuC+17], acc9 // copy acc to vreg[9]
v_accvgpr_read_b32 v[vgprValuC+18], acc10 // copy acc to vreg[10]
v_accvgpr_read_b32 v[vgprValuC+19], acc11 // copy acc to vreg[11]
v_accvgpr_read_b32 v[vgprValuC+20], acc12 // copy acc to vreg[12]
v_accvgpr_read_b32 v[vgprValuC+21], acc13 // copy acc to vreg[13]
v_accvgpr_read_b32 v[vgprValuC+22], acc14 // copy acc to vreg[14]
v_accvgpr_read_b32 v[vgprValuC+23], acc15 // copy acc to vreg[15]
v_accvgpr_read_b32 v[vgprValuC+24], acc16 // copy acc to vreg[16]
v_accvgpr_read_b32 v[vgprValuC+25], acc17 // copy acc to vreg[17]
v_accvgpr_read_b32 v[vgprValuC+26], acc18 // copy acc to vreg[18]
v_accvgpr_read_b32 v[vgprValuC+27], acc19 // copy acc to vreg[19]
v_accvgpr_read_b32 v[vgprValuC+28], acc20 // copy acc to vreg[20]
v_accvgpr_read_b32 v[vgprValuC+29], acc21 // copy acc to vreg[21]
v_accvgpr_read_b32 v[vgprValuC+30], acc22 // copy acc to vreg[22]
v_accvgpr_read_b32 v[vgprValuC+31], acc23 // copy acc to vreg[23]
v_accvgpr_read_b32 v[vgprValuC+32], acc24 // copy acc to vreg[24]
v_accvgpr_read_b32 v[vgprValuC+33], acc25 // copy acc to vreg[25]
v_accvgpr_read_b32 v[vgprValuC+34], acc26 // copy acc to vreg[26]
v_accvgpr_read_b32 v[vgprValuC+35], acc27 // copy acc to vreg[27]
v_accvgpr_read_b32 v[vgprValuC+36], acc28 // copy acc to vreg[28]
v_accvgpr_read_b32 v[vgprValuC+37], acc29 // copy acc to vreg[29]
v_accvgpr_read_b32 v[vgprValuC+38], acc30 // copy acc to vreg[30]
v_accvgpr_read_b32 v[vgprValuC+39], acc31 // copy acc to vreg[31]
v_accvgpr_read_b32 v[vgprValuC+40], acc32 // copy acc to vreg[32]
v_accvgpr_read_b32 v[vgprValuC+41], acc33 // copy acc to vreg[33]
v_accvgpr_read_b32 v[vgprValuC+42], acc34 // copy acc to vreg[34]
v_accvgpr_read_b32 v[vgprValuC+43], acc35 // copy acc to vreg[35]
s_nop 1                                            // 2 wait states required before reading vgpr

/* rC *= alpha batchElements=[(0, 0, 0, 0), (0, 1, 0, 0), (0, 2, 0, 0), (1, 0, 0, 0), (1, 1, 0, 0), (1, 2, 0, 0), (2, 0, 0, 0), (2, 1, 0, 0), (2, 2, 0, 0)] */
v_mul_lo_u32 v[vgprValuC+8], s[sgprAlpha], v[vgprValuC+8] // *= alpha
v_mul_lo_u32 v[vgprValuC+9], s[sgprAlpha], v[vgprValuC+9] // *= alpha
	;; [unrolled: 1-line block ×36, first 2 shown]

/* apply mask, calc new C and issue writes */
_buffer_store_b128 v[8:11], v6, s[sgprSrdD:sgprSrdD+3], 0, offen, offset:0 // store D
_buffer_store_b128 v[12:15], v6, s[sgprSrdD:sgprSrdD+3], 0, offen, offset:128 // store D
	;; [unrolled: 1-line block ×3, first 2 shown]
s_mul_i32 s32, s[sgprStrideD1J], 128               // scale StrideD *= numRows(32) * bpe
s_add_u32  s[sgprSrdD+0], s[sgprSrdD+0], s32       // incToNextRow: gra SRD += inc(lower)
s_addc_u32  s[sgprSrdD+1], s[sgprSrdD+1], 0        // incToNextRow: gra SRD += inc(upper)
_buffer_store_b128 v[20:23], v6, s[sgprSrdD:sgprSrdD+3], 0, offen, offset:0 // store D
_buffer_store_b128 v[24:27], v6, s[sgprSrdD:sgprSrdD+3], 0, offen, offset:128 // store D
	;; [unrolled: 1-line block ×3, first 2 shown]
s_mul_i32 s32, s[sgprStrideD1J], 128               // scale StrideD *= numRows(32) * bpe
s_add_u32  s[sgprSrdD+0], s[sgprSrdD+0], s32       // incToNextRow: gra SRD += inc(lower)
s_addc_u32  s[sgprSrdD+1], s[sgprSrdD+1], 0        // incToNextRow: gra SRD += inc(upper)
_buffer_store_b128 v[32:35], v6, s[sgprSrdD:sgprSrdD+3], 0, offen, offset:0 // store D
_buffer_store_b128 v[36:39], v6, s[sgprSrdD:sgprSrdD+3], 0, offen, offset:128 // store D
	;; [unrolled: 1-line block ×3, first 2 shown]
s_nop 0                                            // 1 wait state required when next inst writes vgprs held by previous dwordx4 store inst
s_branch label_GW_End_266                          // jump to end
GW_B0_E1_258:

/* edge=1, allocate 6 sgpr. perBatchTmpS=4 perBatchMaskS=2 perElementMaskS=0 elementsPerBatch=48 */
/* optSingleColVgpr=0 optSharedColVgpr=0 optSGPRUsage=BufferLoad_Edge_Mask optSrdIncForRow=0 */

/******************************************/
/* Global Write Alpha Edge Batch #0 (d1,d0,vc1,vc0) = */
/*    (0,0,0,0:vw4); (0,1,0,0:vw4); (0,2,0,0:vw4); (1,0,0,0:vw4); (1,1,0,0:vw4); (1,2,0,0:vw4); (2,0,0,0:vw4); (2,1,0,0:vw4); (2,2,0,0:vw4) */
/******************************************/

/* calc coords, apply mask, and issue loads (if necessary) */
/* (d1,vc1,d0,vc0)=(0,0,0,0) */
v_cmp_lt_u32 s[52:53], v0, s[sgprSizeI]            // coord0 < size0
v_cmp_lt_u32 s[56:57], v1, s[sgprSizeJ]            // coord1 < size1
s_and_b64 s[56:57], s[52:53], s[56:57]             // in0 && in1
_v_add_lshl_u32 v6, v3, v0, 0x2                    // scaleToBpe: accumulate d0 lower and *= bpe into Cin addr
v_cndmask_b32 v6, -1, v6, s[56:57]                 // LDD clip if OOB. offset
/* (d1,vc1,d0,vc0)=(0,0,1,0) */
_v_add_co_u32 v4, vcc, v0, 32                      // coord0.1: coord0 += d0*sg0*VW + vc0
v_cmp_lt_u32 s[52:53], v4, s[sgprSizeI]            // coord0 < size0
v_cmp_lt_u32 s[56:57], v1, s[sgprSizeJ]            // coord1 < size1
s_and_b64 s[56:57], s[52:53], s[56:57]             // in0 && in1
_v_add_lshl_u32 v7, v3, v4, 0x2                    // scaleToBpe: accumulate d0 lower and *= bpe into Cin addr
v_cndmask_b32 v7, -1, v7, s[56:57]                 // LDD clip if OOB. offset
/* (d1,vc1,d0,vc0)=(0,0,2,0) */
_v_add_co_u32 v4, vcc, v0, 64                      // coord0.1: coord0 += d0*sg0*VW + vc0
v_cmp_lt_u32 s[52:53], v4, s[sgprSizeI]            // coord0 < size0
v_cmp_lt_u32 s[56:57], v1, s[sgprSizeJ]            // coord1 < size1
s_and_b64 s[56:57], s[52:53], s[56:57]             // in0 && in1
_v_add_lshl_u32 v16, v3, v4, 0x2                   // scaleToBpe: accumulate d0 lower and *= bpe into Cin addr
v_cndmask_b32 v16, -1, v16, s[56:57]               // LDD clip if OOB. offset
/* (d1,vc1,d0,vc0)=(1,0,0,0) */
_v_add_co_u32 v1, vcc, v1, 32                      // coord1.1: coord1Vgpr += d1*sg1*VW + vc1

/* Fix for UseInitialStridesCD, emitAddressSetupCode */
s_mul_i32 s52, s[sgprStrideC1J], 32                // scale stride
_v_add_u32 v2, v2, s52                             // ROWINC- Move cinRowPtr to next row
s_mul_i32 s52, s[sgprStrideD1J], 32                // scale stride
_v_add_u32 v3, v3, s52                             // Move coutRowPtr to next row
v_cmp_lt_u32 s[52:53], v0, s[sgprSizeI]            // coord0 < size0
v_cmp_lt_u32 s[56:57], v1, s[sgprSizeJ]            // coord1 < size1
s_and_b64 s[56:57], s[52:53], s[56:57]             // in0 && in1
_v_add_lshl_u32 v17, v3, v0, 0x2                   // scaleToBpe: accumulate d0 lower and *= bpe into Cin addr
v_cndmask_b32 v17, -1, v17, s[56:57]               // LDD clip if OOB. offset
/* (d1,vc1,d0,vc0)=(1,0,1,0) */
_v_add_co_u32 v4, vcc, v0, 32                      // coord0.1: coord0 += d0*sg0*VW + vc0
v_cmp_lt_u32 s[52:53], v4, s[sgprSizeI]            // coord0 < size0
v_cmp_lt_u32 s[56:57], v1, s[sgprSizeJ]            // coord1 < size1
s_and_b64 s[56:57], s[52:53], s[56:57]             // in0 && in1
_v_add_lshl_u32 v18, v3, v4, 0x2                   // scaleToBpe: accumulate d0 lower and *= bpe into Cin addr
v_cndmask_b32 v18, -1, v18, s[56:57]               // LDD clip if OOB. offset
/* (d1,vc1,d0,vc0)=(1,0,2,0) */
_v_add_co_u32 v4, vcc, v0, 64                      // coord0.1: coord0 += d0*sg0*VW + vc0
v_cmp_lt_u32 s[52:53], v4, s[sgprSizeI]            // coord0 < size0
v_cmp_lt_u32 s[56:57], v1, s[sgprSizeJ]            // coord1 < size1
s_and_b64 s[56:57], s[52:53], s[56:57]             // in0 && in1
_v_add_lshl_u32 v19, v3, v4, 0x2                   // scaleToBpe: accumulate d0 lower and *= bpe into Cin addr
v_cndmask_b32 v19, -1, v19, s[56:57]               // LDD clip if OOB. offset
/* (d1,vc1,d0,vc0)=(2,0,0,0) */
_v_add_co_u32 v1, vcc, v1, 32                      // coord1.1: coord1Vgpr += d1*sg1*VW + vc1

/* Fix for UseInitialStridesCD, emitAddressSetupCode */
s_mul_i32 s52, s[sgprStrideC1J], 32                // scale stride
_v_add_u32 v2, v2, s52                             // ROWINC- Move cinRowPtr to next row
s_mul_i32 s52, s[sgprStrideD1J], 32                // scale stride
_v_add_u32 v3, v3, s52                             // Move coutRowPtr to next row
v_cmp_lt_u32 s[52:53], v0, s[sgprSizeI]            // coord0 < size0
v_cmp_lt_u32 s[56:57], v1, s[sgprSizeJ]            // coord1 < size1
s_and_b64 s[56:57], s[52:53], s[56:57]             // in0 && in1
_v_add_lshl_u32 v36, v3, v0, 0x2                   // scaleToBpe: accumulate d0 lower and *= bpe into Cin addr
v_cndmask_b32 v36, -1, v36, s[56:57]               // LDD clip if OOB. offset
/* (d1,vc1,d0,vc0)=(2,0,1,0) */
_v_add_co_u32 v4, vcc, v0, 32                      // coord0.1: coord0 += d0*sg0*VW + vc0
v_cmp_lt_u32 s[52:53], v4, s[sgprSizeI]            // coord0 < size0
v_cmp_lt_u32 s[56:57], v1, s[sgprSizeJ]            // coord1 < size1
s_and_b64 s[56:57], s[52:53], s[56:57]             // in0 && in1
_v_add_lshl_u32 v37, v3, v4, 0x2                   // scaleToBpe: accumulate d0 lower and *= bpe into Cin addr
v_cndmask_b32 v37, -1, v37, s[56:57]               // LDD clip if OOB. offset
/* (d1,vc1,d0,vc0)=(2,0,2,0) */
_v_add_co_u32 v4, vcc, v0, 64                      // coord0.1: coord0 += d0*sg0*VW + vc0
v_cmp_lt_u32 s[52:53], v4, s[sgprSizeI]            // coord0 < size0
v_cmp_lt_u32 s[56:57], v1, s[sgprSizeJ]            // coord1 < size1
s_and_b64 s[56:57], s[52:53], s[56:57]             // in0 && in1
_v_add_lshl_u32 v38, v3, v4, 0x2                   // scaleToBpe: accumulate d0 lower and *= bpe into Cin addr
v_cndmask_b32 v38, -1, v38, s[56:57]               // LDD clip if OOB. offset
v_accvgpr_read_b32 v[vgprValuC+8], acc0 // copy acc to vreg[0]
v_accvgpr_read_b32 v[vgprValuC+9], acc1 // copy acc to vreg[1]
v_accvgpr_read_b32 v[vgprValuC+10], acc2 // copy acc to vreg[2]
v_accvgpr_read_b32 v[vgprValuC+11], acc3 // copy acc to vreg[3]
v_accvgpr_read_b32 v[vgprValuC+12], acc4 // copy acc to vreg[4]
v_accvgpr_read_b32 v[vgprValuC+13], acc5 // copy acc to vreg[5]
v_accvgpr_read_b32 v[vgprValuC+14], acc6 // copy acc to vreg[6]
v_accvgpr_read_b32 v[vgprValuC+15], acc7 // copy acc to vreg[7]
v_accvgpr_read_b32 v[vgprValuC+20], acc8 // copy acc to vreg[8]
v_accvgpr_read_b32 v[vgprValuC+21], acc9 // copy acc to vreg[9]
v_accvgpr_read_b32 v[vgprValuC+22], acc10 // copy acc to vreg[10]
v_accvgpr_read_b32 v[vgprValuC+23], acc11 // copy acc to vreg[11]
v_accvgpr_read_b32 v[vgprValuC+24], acc12 // copy acc to vreg[12]
v_accvgpr_read_b32 v[vgprValuC+25], acc13 // copy acc to vreg[13]
v_accvgpr_read_b32 v[vgprValuC+26], acc14 // copy acc to vreg[14]
v_accvgpr_read_b32 v[vgprValuC+27], acc15 // copy acc to vreg[15]
v_accvgpr_read_b32 v[vgprValuC+28], acc16 // copy acc to vreg[16]
v_accvgpr_read_b32 v[vgprValuC+29], acc17 // copy acc to vreg[17]
v_accvgpr_read_b32 v[vgprValuC+30], acc18 // copy acc to vreg[18]
v_accvgpr_read_b32 v[vgprValuC+31], acc19 // copy acc to vreg[19]
v_accvgpr_read_b32 v[vgprValuC+32], acc20 // copy acc to vreg[20]
v_accvgpr_read_b32 v[vgprValuC+33], acc21 // copy acc to vreg[21]
v_accvgpr_read_b32 v[vgprValuC+34], acc22 // copy acc to vreg[22]
v_accvgpr_read_b32 v[vgprValuC+35], acc23 // copy acc to vreg[23]
v_accvgpr_read_b32 v[vgprValuC+40], acc24 // copy acc to vreg[24]
v_accvgpr_read_b32 v[vgprValuC+41], acc25 // copy acc to vreg[25]
v_accvgpr_read_b32 v[vgprValuC+42], acc26 // copy acc to vreg[26]
v_accvgpr_read_b32 v[vgprValuC+43], acc27 // copy acc to vreg[27]
v_accvgpr_read_b32 v[vgprValuC+48], acc28 // copy acc to vreg[28]
v_accvgpr_read_b32 v[vgprValuC+49], acc29 // copy acc to vreg[29]
v_accvgpr_read_b32 v[vgprValuC+50], acc30 // copy acc to vreg[30]
v_accvgpr_read_b32 v[vgprValuC+51], acc31 // copy acc to vreg[31]
v_accvgpr_read_b32 v[vgprValuC+52], acc32 // copy acc to vreg[32]
v_accvgpr_read_b32 v[vgprValuC+53], acc33 // copy acc to vreg[33]
v_accvgpr_read_b32 v[vgprValuC+54], acc34 // copy acc to vreg[34]
v_accvgpr_read_b32 v[vgprValuC+55], acc35 // copy acc to vreg[35]
s_nop 1                                            // 2 wait states required before reading vgpr

/* rC *= alpha batchElements=[(0, 0, 0, 0), (0, 1, 0, 0), (0, 2, 0, 0), (1, 0, 0, 0), (1, 1, 0, 0), (1, 2, 0, 0), (2, 0, 0, 0), (2, 1, 0, 0), (2, 2, 0, 0)] */
v_mul_lo_u32 v[vgprValuC+8], s[sgprAlpha], v[vgprValuC+8] // *= alpha
v_mul_lo_u32 v[vgprValuC+9], s[sgprAlpha], v[vgprValuC+9] // *= alpha
	;; [unrolled: 1-line block ×36, first 2 shown]

/* apply mask, calc new C and issue writes */
_buffer_store_b128 v[8:11], v6, s[sgprSrdD:sgprSrdD+3], 0, offen, offset:0 // store D
_buffer_store_b128 v[12:15], v7, s[sgprSrdD:sgprSrdD+3], 0, offen, offset:0 // store D
	;; [unrolled: 1-line block ×9, first 2 shown]
s_nop 0                                            // 1 wait state required when next inst writes vgprs held by previous dwordx4 store inst
s_branch label_GW_End_266                          // jump to end
GW_Beta_267:
s_mov_b32 s35, 0x0                                 // STATIC_DIV: divisior=96
s_mul_i32 s34, 0x555, s[sgprSizeI]                 // tmp1 = dividend * magic hi
s_lshl_b64 s[34:35], s[34:35], 0x10                // left shift 16 bits
s_mul_i32 s33, s[sgprSizeI], 0x5556                // tmp0 = dividend * magic lo
s_add_u32 s34, s33, s34                            // add lo
s_addc_u32 s35, s35, 0x0                           // add hi
s_lshr_b64 s[34:35], s[34:35], 0x21                // tmp1 = (dividend * magic) << shift
s_mov_b32 s33, s34                                 // quotient
s_mul_i32 s34, s33, 0x60                           // quotient*divisor
s_sub_u32 s32, s[sgprSizeI], s34                   // rReg = dividend - quotient*divisor
s_add_u32 s33, -0x1, s[sgprNumWorkGroups0]         // 
s_cmp_ge_u32 s[sgprWorkGroup0], s33                // wg0 >= nwg0-1 ?
s_cselect_b32 s32, s32, 0                          // set rMT0
s_cmpk_gt_u32 s32, 0x0                             // rMT0 > 0
s_cbranch_scc1 GW_B1_E1_265                        // jump if edges required
s_mov_b32 s35, 0x0                                 // STATIC_DIV: divisior=96
s_mul_i32 s34, 0x555, s[sgprSizeJ]                 // tmp1 = dividend * magic hi
s_lshl_b64 s[34:35], s[34:35], 0x10                // left shift 16 bits
s_mul_i32 s33, s[sgprSizeJ], 0x5556                // tmp0 = dividend * magic lo
s_add_u32 s34, s33, s34                            // add lo
s_addc_u32 s35, s35, 0x0                           // add hi
s_lshr_b64 s[34:35], s[34:35], 0x21                // tmp1 = (dividend * magic) << shift
s_mov_b32 s33, s34                                 // quotient
s_mul_i32 s34, s33, 0x60                           // quotient*divisor
s_sub_u32 s32, s[sgprSizeJ], s34                   // rReg = dividend - quotient*divisor
s_add_u32 s33, -0x1, s[sgprNumWorkGroups1]         // 
s_cmp_ge_u32 s[sgprWorkGroup1], s33                // wg1 >= nwg1-1
s_cselect_b32 s32, s32, 0                          // set rMT1
s_cmpk_gt_u32 s32, 0x0                             // rMT1 > 0
s_cbranch_scc1 GW_B1_E1_265                        // jump if edges required
GW_B1_E0_262:

/* edge=0, allocate 2 sgpr. perBatchTmpS=2 perBatchMaskS=0 perElementMaskS=0 elementsPerBatch=30 */
/* optSingleColVgpr=1 optSharedColVgpr=0 optSGPRUsage=BufferLoad_Mask optSrdIncForRow=1 */

/******************************************/
/* Global Write Alpha Beta Batch #0 (d1,d0,vc1,vc0) = */
/*    (0,0,0,0:vw4); (0,1,0,0:vw4); (0,2,0,0:vw4); (1,0,0,0:vw4); (1,1,0,0:vw4); (1,2,0,0:vw4); (2,0,0,0:vw4); (2,1,0,0:vw4); (2,2,0,0:vw4) */
/******************************************/

/* calc coords, apply mask, and issue loads (if necessary) */
/* (d1,vc1,d0,vc0)=(0,0,0,0) */
_v_add_lshl_u32 v7, v2, v0, 0x2                    // optSingleColVgpr scaleToBpe: sharedAddrVgpr <- cinRowPtr + coord0, scaled by BPE. BSHERE:coord0=0, coord0Vgpr=0
_buffer_load_b128 v[8:11], v7, s[sgprSrdC:sgprSrdC+3], 0, offen offset:0 // load C for beta calc
/* (d1,vc1,d0,vc0)=(0,0,1,0) */
_buffer_load_b128 v[16:19], v7, s[sgprSrdC:sgprSrdC+3], 0, offen offset:128 // load C for beta calc
/* (d1,vc1,d0,vc0)=(0,0,2,0) */
	;; [unrolled: 2-line block ×3, first 2 shown]
s_mul_i32 s32, s[sgprStrideC1J], 128               // scale StrideC *= numRows(32) * bpe
s_add_u32  s[sgprSrdC+0], s[sgprSrdC+0], s32       // incToNextRow: gra SRD += inc(lower)
s_addc_u32  s[sgprSrdC+1], s[sgprSrdC+1], 0        // incToNextRow: gra SRD += inc(upper)
_buffer_load_b128 v[32:35], v7, s[sgprSrdC:sgprSrdC+3], 0, offen offset:0 // load C for beta calc
/* (d1,vc1,d0,vc0)=(1,0,1,0) */
_buffer_load_b128 v[40:43], v7, s[sgprSrdC:sgprSrdC+3], 0, offen offset:128 // load C for beta calc
/* (d1,vc1,d0,vc0)=(1,0,2,0) */
	;; [unrolled: 2-line block ×3, first 2 shown]
s_mul_i32 s32, s[sgprStrideC1J], 128               // scale StrideC *= numRows(32) * bpe
s_add_u32  s[sgprSrdC+0], s[sgprSrdC+0], s32       // incToNextRow: gra SRD += inc(lower)
s_addc_u32  s[sgprSrdC+1], s[sgprSrdC+1], 0        // incToNextRow: gra SRD += inc(upper)
_buffer_load_b128 v[60:63], v7, s[sgprSrdC:sgprSrdC+3], 0, offen offset:0 // load C for beta calc
/* (d1,vc1,d0,vc0)=(2,0,1,0) */
_buffer_load_b128 v[68:71], v7, s[sgprSrdC:sgprSrdC+3], 0, offen offset:128 // load C for beta calc
/* (d1,vc1,d0,vc0)=(2,0,2,0) */
_buffer_load_b128 v[76:79], v7, s[sgprSrdC:sgprSrdC+3], 0, offen offset:256 // load C for beta calc
_v_add_lshl_u32 v6, v3, v0, 0x2                    // optSingleColVgpr scaleToBpe: sharedAddrVgpr <- cinRowPtr + coord0, scaled by BPE. BSHERE:coord0=0, coord0Vgpr=0
v_accvgpr_read_b32 v[vgprValuC+12], acc0 // copy acc to vreg[0]
v_accvgpr_read_b32 v[vgprValuC+13], acc1 // copy acc to vreg[1]
v_accvgpr_read_b32 v[vgprValuC+14], acc2 // copy acc to vreg[2]
v_accvgpr_read_b32 v[vgprValuC+15], acc3 // copy acc to vreg[3]
v_accvgpr_read_b32 v[vgprValuC+20], acc4 // copy acc to vreg[4]
v_accvgpr_read_b32 v[vgprValuC+21], acc5 // copy acc to vreg[5]
v_accvgpr_read_b32 v[vgprValuC+22], acc6 // copy acc to vreg[6]
v_accvgpr_read_b32 v[vgprValuC+23], acc7 // copy acc to vreg[7]
v_accvgpr_read_b32 v[vgprValuC+28], acc8 // copy acc to vreg[8]
v_accvgpr_read_b32 v[vgprValuC+29], acc9 // copy acc to vreg[9]
v_accvgpr_read_b32 v[vgprValuC+30], acc10 // copy acc to vreg[10]
v_accvgpr_read_b32 v[vgprValuC+31], acc11 // copy acc to vreg[11]
v_accvgpr_read_b32 v[vgprValuC+36], acc12 // copy acc to vreg[12]
v_accvgpr_read_b32 v[vgprValuC+37], acc13 // copy acc to vreg[13]
v_accvgpr_read_b32 v[vgprValuC+38], acc14 // copy acc to vreg[14]
v_accvgpr_read_b32 v[vgprValuC+39], acc15 // copy acc to vreg[15]
v_accvgpr_read_b32 v[vgprValuC+48], acc16 // copy acc to vreg[16]
v_accvgpr_read_b32 v[vgprValuC+49], acc17 // copy acc to vreg[17]
v_accvgpr_read_b32 v[vgprValuC+50], acc18 // copy acc to vreg[18]
v_accvgpr_read_b32 v[vgprValuC+51], acc19 // copy acc to vreg[19]
v_accvgpr_read_b32 v[vgprValuC+56], acc20 // copy acc to vreg[20]
v_accvgpr_read_b32 v[vgprValuC+57], acc21 // copy acc to vreg[21]
v_accvgpr_read_b32 v[vgprValuC+58], acc22 // copy acc to vreg[22]
v_accvgpr_read_b32 v[vgprValuC+59], acc23 // copy acc to vreg[23]
v_accvgpr_read_b32 v[vgprValuC+64], acc24 // copy acc to vreg[24]
v_accvgpr_read_b32 v[vgprValuC+65], acc25 // copy acc to vreg[25]
v_accvgpr_read_b32 v[vgprValuC+66], acc26 // copy acc to vreg[26]
v_accvgpr_read_b32 v[vgprValuC+67], acc27 // copy acc to vreg[27]
v_accvgpr_read_b32 v[vgprValuC+72], acc28 // copy acc to vreg[28]
v_accvgpr_read_b32 v[vgprValuC+73], acc29 // copy acc to vreg[29]
v_accvgpr_read_b32 v[vgprValuC+74], acc30 // copy acc to vreg[30]
v_accvgpr_read_b32 v[vgprValuC+75], acc31 // copy acc to vreg[31]
v_accvgpr_read_b32 v[vgprValuC+80], acc32 // copy acc to vreg[32]
v_accvgpr_read_b32 v[vgprValuC+81], acc33 // copy acc to vreg[33]
v_accvgpr_read_b32 v[vgprValuC+82], acc34 // copy acc to vreg[34]
v_accvgpr_read_b32 v[vgprValuC+83], acc35 // copy acc to vreg[35]
s_nop 1                                            // 2 wait states required before reading vgpr

/* rC *= alpha batchElements=[(0, 0, 0, 0), (0, 1, 0, 0), (0, 2, 0, 0), (1, 0, 0, 0), (1, 1, 0, 0), (1, 2, 0, 0), (2, 0, 0, 0), (2, 1, 0, 0), (2, 2, 0, 0)] */
v_mul_lo_u32 v[vgprValuC+12], s[sgprAlpha], v[vgprValuC+12] // *= alpha
v_mul_lo_u32 v[vgprValuC+13], s[sgprAlpha], v[vgprValuC+13] // *= alpha
v_mul_lo_u32 v[vgprValuC+14], s[sgprAlpha], v[vgprValuC+14] // *= alpha
v_mul_lo_u32 v[vgprValuC+15], s[sgprAlpha], v[vgprValuC+15] // *= alpha
v_mul_lo_u32 v[vgprValuC+20], s[sgprAlpha], v[vgprValuC+20] // *= alpha
v_mul_lo_u32 v[vgprValuC+21], s[sgprAlpha], v[vgprValuC+21] // *= alpha
v_mul_lo_u32 v[vgprValuC+22], s[sgprAlpha], v[vgprValuC+22] // *= alpha
v_mul_lo_u32 v[vgprValuC+23], s[sgprAlpha], v[vgprValuC+23] // *= alpha
v_mul_lo_u32 v[vgprValuC+28], s[sgprAlpha], v[vgprValuC+28] // *= alpha
v_mul_lo_u32 v[vgprValuC+29], s[sgprAlpha], v[vgprValuC+29] // *= alpha
v_mul_lo_u32 v[vgprValuC+30], s[sgprAlpha], v[vgprValuC+30] // *= alpha
v_mul_lo_u32 v[vgprValuC+31], s[sgprAlpha], v[vgprValuC+31] // *= alpha
v_mul_lo_u32 v[vgprValuC+36], s[sgprAlpha], v[vgprValuC+36] // *= alpha
v_mul_lo_u32 v[vgprValuC+37], s[sgprAlpha], v[vgprValuC+37] // *= alpha
v_mul_lo_u32 v[vgprValuC+38], s[sgprAlpha], v[vgprValuC+38] // *= alpha
v_mul_lo_u32 v[vgprValuC+39], s[sgprAlpha], v[vgprValuC+39] // *= alpha
v_mul_lo_u32 v[vgprValuC+48], s[sgprAlpha], v[vgprValuC+48] // *= alpha
v_mul_lo_u32 v[vgprValuC+49], s[sgprAlpha], v[vgprValuC+49] // *= alpha
v_mul_lo_u32 v[vgprValuC+50], s[sgprAlpha], v[vgprValuC+50] // *= alpha
v_mul_lo_u32 v[vgprValuC+51], s[sgprAlpha], v[vgprValuC+51] // *= alpha
v_mul_lo_u32 v[vgprValuC+56], s[sgprAlpha], v[vgprValuC+56] // *= alpha
v_mul_lo_u32 v[vgprValuC+57], s[sgprAlpha], v[vgprValuC+57] // *= alpha
v_mul_lo_u32 v[vgprValuC+58], s[sgprAlpha], v[vgprValuC+58] // *= alpha
v_mul_lo_u32 v[vgprValuC+59], s[sgprAlpha], v[vgprValuC+59] // *= alpha
v_mul_lo_u32 v[vgprValuC+64], s[sgprAlpha], v[vgprValuC+64] // *= alpha
v_mul_lo_u32 v[vgprValuC+65], s[sgprAlpha], v[vgprValuC+65] // *= alpha
v_mul_lo_u32 v[vgprValuC+66], s[sgprAlpha], v[vgprValuC+66] // *= alpha
v_mul_lo_u32 v[vgprValuC+67], s[sgprAlpha], v[vgprValuC+67] // *= alpha
v_mul_lo_u32 v[vgprValuC+72], s[sgprAlpha], v[vgprValuC+72] // *= alpha
v_mul_lo_u32 v[vgprValuC+73], s[sgprAlpha], v[vgprValuC+73] // *= alpha
v_mul_lo_u32 v[vgprValuC+74], s[sgprAlpha], v[vgprValuC+74] // *= alpha
v_mul_lo_u32 v[vgprValuC+75], s[sgprAlpha], v[vgprValuC+75] // *= alpha
v_mul_lo_u32 v[vgprValuC+80], s[sgprAlpha], v[vgprValuC+80] // *= alpha
v_mul_lo_u32 v[vgprValuC+81], s[sgprAlpha], v[vgprValuC+81] // *= alpha
v_mul_lo_u32 v[vgprValuC+82], s[sgprAlpha], v[vgprValuC+82] // *= alpha
v_mul_lo_u32 v[vgprValuC+83], s[sgprAlpha], v[vgprValuC+83] // *= alpha

/* apply mask, calc new C and issue writes */

s_waitcnt vmcnt(8)                                 // wait C (interleaved) 8 = 9 - 0 + 0 - 1
v_mul_lo_u32 v8, s[sgprBeta], v8                   // C = C*beta
_v_add_u32 v[vgprValuC+12], v8, v[vgprValuC+12]    // finalSum = sum*alpha + C*beta
v_mul_lo_u32 v9, s[sgprBeta], v9                   // C = C*beta
_v_add_u32 v[vgprValuC+13], v9, v[vgprValuC+13]    // finalSum = sum*alpha + C*beta
v_mul_lo_u32 v10, s[sgprBeta], v10                 // C = C*beta
_v_add_u32 v[vgprValuC+14], v10, v[vgprValuC+14]   // finalSum = sum*alpha + C*beta
v_mul_lo_u32 v11, s[sgprBeta], v11                 // C = C*beta
_v_add_u32 v[vgprValuC+15], v11, v[vgprValuC+15]   // finalSum = sum*alpha + C*beta
_buffer_store_b128 v[12:15], v6, s[sgprSrdD:sgprSrdD+3], 0, offen, offset:0 // store D

s_waitcnt vmcnt(8)                                 // wait C (interleaved) 8 = 9 - 1 + 1 - 1
v_mul_lo_u32 v16, s[sgprBeta], v16                 // C = C*beta
_v_add_u32 v[vgprValuC+20], v16, v[vgprValuC+20]   // finalSum = sum*alpha + C*beta
v_mul_lo_u32 v17, s[sgprBeta], v17                 // C = C*beta
_v_add_u32 v[vgprValuC+21], v17, v[vgprValuC+21]   // finalSum = sum*alpha + C*beta
v_mul_lo_u32 v18, s[sgprBeta], v18                 // C = C*beta
_v_add_u32 v[vgprValuC+22], v18, v[vgprValuC+22]   // finalSum = sum*alpha + C*beta
v_mul_lo_u32 v19, s[sgprBeta], v19                 // C = C*beta
_v_add_u32 v[vgprValuC+23], v19, v[vgprValuC+23]   // finalSum = sum*alpha + C*beta
_buffer_store_b128 v[20:23], v6, s[sgprSrdD:sgprSrdD+3], 0, offen, offset:128 // store D

s_waitcnt vmcnt(8)                                 // wait C (interleaved) 8 = 9 - 2 + 2 - 1
v_mul_lo_u32 v24, s[sgprBeta], v24                 // C = C*beta
_v_add_u32 v[vgprValuC+28], v24, v[vgprValuC+28]   // finalSum = sum*alpha + C*beta
v_mul_lo_u32 v25, s[sgprBeta], v25                 // C = C*beta
_v_add_u32 v[vgprValuC+29], v25, v[vgprValuC+29]   // finalSum = sum*alpha + C*beta
	;; [unrolled: 11-line block ×3, first 2 shown]
v_mul_lo_u32 v34, s[sgprBeta], v34                 // C = C*beta
_v_add_u32 v[vgprValuC+38], v34, v[vgprValuC+38]   // finalSum = sum*alpha + C*beta
v_mul_lo_u32 v35, s[sgprBeta], v35                 // C = C*beta
_v_add_u32 v[vgprValuC+39], v35, v[vgprValuC+39]   // finalSum = sum*alpha + C*beta
s_mul_i32 s32, s[sgprStrideD1J], 128               // scale StrideD *= numRows(32) * bpe
s_add_u32  s[sgprSrdD+0], s[sgprSrdD+0], s32       // incToNextRow: gra SRD += inc(lower)
s_addc_u32  s[sgprSrdD+1], s[sgprSrdD+1], 0        // incToNextRow: gra SRD += inc(upper)
_buffer_store_b128 v[36:39], v6, s[sgprSrdD:sgprSrdD+3], 0, offen, offset:0 // store D

s_waitcnt vmcnt(8)                                 // wait C (interleaved) 8 = 9 - 4 + 4 - 1
v_mul_lo_u32 v40, s[sgprBeta], v40                 // C = C*beta
_v_add_u32 v[vgprValuC+48], v40, v[vgprValuC+48]   // finalSum = sum*alpha + C*beta
v_mul_lo_u32 v41, s[sgprBeta], v41                 // C = C*beta
_v_add_u32 v[vgprValuC+49], v41, v[vgprValuC+49]   // finalSum = sum*alpha + C*beta
v_mul_lo_u32 v42, s[sgprBeta], v42                 // C = C*beta
_v_add_u32 v[vgprValuC+50], v42, v[vgprValuC+50]   // finalSum = sum*alpha + C*beta
v_mul_lo_u32 v43, s[sgprBeta], v43                 // C = C*beta
_v_add_u32 v[vgprValuC+51], v43, v[vgprValuC+51]   // finalSum = sum*alpha + C*beta
_buffer_store_b128 v[48:51], v6, s[sgprSrdD:sgprSrdD+3], 0, offen, offset:128 // store D

s_waitcnt vmcnt(8)                                 // wait C (interleaved) 8 = 9 - 5 + 5 - 1
v_mul_lo_u32 v52, s[sgprBeta], v52                 // C = C*beta
_v_add_u32 v[vgprValuC+56], v52, v[vgprValuC+56]   // finalSum = sum*alpha + C*beta
v_mul_lo_u32 v53, s[sgprBeta], v53                 // C = C*beta
_v_add_u32 v[vgprValuC+57], v53, v[vgprValuC+57]   // finalSum = sum*alpha + C*beta
v_mul_lo_u32 v54, s[sgprBeta], v54                 // C = C*beta
_v_add_u32 v[vgprValuC+58], v54, v[vgprValuC+58]   // finalSum = sum*alpha + C*beta
v_mul_lo_u32 v55, s[sgprBeta], v55                 // C = C*beta
_v_add_u32 v[vgprValuC+59], v55, v[vgprValuC+59]   // finalSum = sum*alpha + C*beta
	;; [unrolled: 11-line block ×3, first 2 shown]
s_mul_i32 s32, s[sgprStrideD1J], 128               // scale StrideD *= numRows(32) * bpe
s_add_u32  s[sgprSrdD+0], s[sgprSrdD+0], s32       // incToNextRow: gra SRD += inc(lower)
s_addc_u32  s[sgprSrdD+1], s[sgprSrdD+1], 0        // incToNextRow: gra SRD += inc(upper)
_buffer_store_b128 v[64:67], v6, s[sgprSrdD:sgprSrdD+3], 0, offen, offset:0 // store D

s_waitcnt vmcnt(8)                                 // wait C (interleaved) 8 = 9 - 7 + 7 - 1
v_mul_lo_u32 v68, s[sgprBeta], v68                 // C = C*beta
_v_add_u32 v[vgprValuC+72], v68, v[vgprValuC+72]   // finalSum = sum*alpha + C*beta
v_mul_lo_u32 v69, s[sgprBeta], v69                 // C = C*beta
_v_add_u32 v[vgprValuC+73], v69, v[vgprValuC+73]   // finalSum = sum*alpha + C*beta
v_mul_lo_u32 v70, s[sgprBeta], v70                 // C = C*beta
_v_add_u32 v[vgprValuC+74], v70, v[vgprValuC+74]   // finalSum = sum*alpha + C*beta
v_mul_lo_u32 v71, s[sgprBeta], v71                 // C = C*beta
_v_add_u32 v[vgprValuC+75], v71, v[vgprValuC+75]   // finalSum = sum*alpha + C*beta
_buffer_store_b128 v[72:75], v6, s[sgprSrdD:sgprSrdD+3], 0, offen, offset:128 // store D

s_waitcnt vmcnt(8)                                 // wait C (interleaved) 8 = 9 - 8 + 8 - 1
v_mul_lo_u32 v76, s[sgprBeta], v76                 // C = C*beta
_v_add_u32 v[vgprValuC+80], v76, v[vgprValuC+80]   // finalSum = sum*alpha + C*beta
v_mul_lo_u32 v77, s[sgprBeta], v77                 // C = C*beta
_v_add_u32 v[vgprValuC+81], v77, v[vgprValuC+81]   // finalSum = sum*alpha + C*beta
	;; [unrolled: 2-line block ×4, first 2 shown]
_buffer_store_b128 v[80:83], v6, s[sgprSrdD:sgprSrdD+3], 0, offen, offset:256 // store D
s_nop 0                                            // 1 wait state required when next inst writes vgprs held by previous dwordx4 store inst
s_branch label_GW_End_266                          // jump to end
GW_B1_E1_265:

/* edge=1, allocate 6 sgpr. perBatchTmpS=4 perBatchMaskS=2 perElementMaskS=0 elementsPerBatch=27 */
/* optSingleColVgpr=0 optSharedColVgpr=0 optSGPRUsage=BufferLoad_Edge_Mask optSrdIncForRow=0 */

/******************************************/
/* Global Write Alpha Beta Edge Batch #0 (d1,d0,vc1,vc0) = */
/*    (0,0,0,0:vw4); (0,1,0,0:vw4); (0,2,0,0:vw4); (1,0,0,0:vw4); (1,1,0,0:vw4); (1,2,0,0:vw4); (2,0,0,0:vw4); (2,1,0,0:vw4); (2,2,0,0:vw4) */
/******************************************/

/* calc coords, apply mask, and issue loads (if necessary) */
/* (d1,vc1,d0,vc0)=(0,0,0,0) */
v_cmp_lt_u32 s[52:53], v0, s[sgprSizeI]            // coord0 < size0
v_cmp_lt_u32 s[56:57], v1, s[sgprSizeJ]            // coord1 < size1
s_and_b64 s[56:57], s[52:53], s[56:57]             // in0 && in1
_v_add_lshl_u32 v6, v2, v0, 0x2                    // scaleToBpe: accumulate d0 lower and *= bpe into Cin addr
v_cndmask_b32 v6, -1, v6, s[56:57]                 // LDC clip if OOB. offset
_buffer_load_b128 v[8:11], v6, s[sgprSrdC:sgprSrdC+3], 0, offen offset:0 // load C for beta calc
_v_add_lshl_u32 v6, v3, v0, 0x2                    // scaleToBpe: accumulate d0 lower and *= bpe into Cin addr
v_cndmask_b32 v6, -1, v6, s[56:57]                 // LDD clip if OOB. offset
/* (d1,vc1,d0,vc0)=(0,0,1,0) */
_v_add_co_u32 v4, vcc, v0, 32                      // coord0.1: coord0 += d0*sg0*VW + vc0
v_cmp_lt_u32 s[52:53], v4, s[sgprSizeI]            // coord0 < size0
v_cmp_lt_u32 s[56:57], v1, s[sgprSizeJ]            // coord1 < size1
s_and_b64 s[56:57], s[52:53], s[56:57]             // in0 && in1
_v_add_lshl_u32 v7, v2, v4, 0x2                    // scaleToBpe: accumulate d0 lower and *= bpe into Cin addr
v_cndmask_b32 v7, -1, v7, s[56:57]                 // LDC clip if OOB. offset
_buffer_load_b128 v[16:19], v7, s[sgprSrdC:sgprSrdC+3], 0, offen offset:0 // load C for beta calc
_v_add_lshl_u32 v7, v3, v4, 0x2                    // scaleToBpe: accumulate d0 lower and *= bpe into Cin addr
v_cndmask_b32 v7, -1, v7, s[56:57]                 // LDD clip if OOB. offset
/* (d1,vc1,d0,vc0)=(0,0,2,0) */
_v_add_co_u32 v4, vcc, v0, 64                      // coord0.1: coord0 += d0*sg0*VW + vc0
v_cmp_lt_u32 s[52:53], v4, s[sgprSizeI]            // coord0 < size0
v_cmp_lt_u32 s[56:57], v1, s[sgprSizeJ]            // coord1 < size1
s_and_b64 s[56:57], s[52:53], s[56:57]             // in0 && in1
_v_add_lshl_u32 v24, v2, v4, 0x2                   // scaleToBpe: accumulate d0 lower and *= bpe into Cin addr
v_cndmask_b32 v24, -1, v24, s[56:57]               // LDC clip if OOB. offset
_buffer_load_b128 v[28:31], v24, s[sgprSrdC:sgprSrdC+3], 0, offen offset:0 // load C for beta calc
_v_add_lshl_u32 v24, v3, v4, 0x2                   // scaleToBpe: accumulate d0 lower and *= bpe into Cin addr
v_cndmask_b32 v24, -1, v24, s[56:57]               // LDD clip if OOB. offset
/* (d1,vc1,d0,vc0)=(1,0,0,0) */
_v_add_co_u32 v1, vcc, v1, 32                      // coord1.1: coord1Vgpr += d1*sg1*VW + vc1

/* Fix for UseInitialStridesCD, emitAddressSetupCode */
s_mul_i32 s52, s[sgprStrideC1J], 32                // scale stride
_v_add_u32 v2, v2, s52                             // ROWINC- Move cinRowPtr to next row
s_mul_i32 s52, s[sgprStrideD1J], 32                // scale stride
_v_add_u32 v3, v3, s52                             // Move coutRowPtr to next row
v_cmp_lt_u32 s[52:53], v0, s[sgprSizeI]            // coord0 < size0
v_cmp_lt_u32 s[56:57], v1, s[sgprSizeJ]            // coord1 < size1
s_and_b64 s[56:57], s[52:53], s[56:57]             // in0 && in1
_v_add_lshl_u32 v25, v2, v0, 0x2                   // scaleToBpe: accumulate d0 lower and *= bpe into Cin addr
v_cndmask_b32 v25, -1, v25, s[56:57]               // LDC clip if OOB. offset
_buffer_load_b128 v[36:39], v25, s[sgprSrdC:sgprSrdC+3], 0, offen offset:0 // load C for beta calc
_v_add_lshl_u32 v25, v3, v0, 0x2                   // scaleToBpe: accumulate d0 lower and *= bpe into Cin addr
v_cndmask_b32 v25, -1, v25, s[56:57]               // LDD clip if OOB. offset
/* (d1,vc1,d0,vc0)=(1,0,1,0) */
_v_add_co_u32 v4, vcc, v0, 32                      // coord0.1: coord0 += d0*sg0*VW + vc0
v_cmp_lt_u32 s[52:53], v4, s[sgprSizeI]            // coord0 < size0
v_cmp_lt_u32 s[56:57], v1, s[sgprSizeJ]            // coord1 < size1
s_and_b64 s[56:57], s[52:53], s[56:57]             // in0 && in1
_v_add_lshl_u32 v26, v2, v4, 0x2                   // scaleToBpe: accumulate d0 lower and *= bpe into Cin addr
v_cndmask_b32 v26, -1, v26, s[56:57]               // LDC clip if OOB. offset
_buffer_load_b128 v[48:51], v26, s[sgprSrdC:sgprSrdC+3], 0, offen offset:0 // load C for beta calc
_v_add_lshl_u32 v26, v3, v4, 0x2                   // scaleToBpe: accumulate d0 lower and *= bpe into Cin addr
v_cndmask_b32 v26, -1, v26, s[56:57]               // LDD clip if OOB. offset
/* (d1,vc1,d0,vc0)=(1,0,2,0) */
_v_add_co_u32 v4, vcc, v0, 64                      // coord0.1: coord0 += d0*sg0*VW + vc0
v_cmp_lt_u32 s[52:53], v4, s[sgprSizeI]            // coord0 < size0
v_cmp_lt_u32 s[56:57], v1, s[sgprSizeJ]            // coord1 < size1
s_and_b64 s[56:57], s[52:53], s[56:57]             // in0 && in1
_v_add_lshl_u32 v27, v2, v4, 0x2                   // scaleToBpe: accumulate d0 lower and *= bpe into Cin addr
v_cndmask_b32 v27, -1, v27, s[56:57]               // LDC clip if OOB. offset
_buffer_load_b128 v[56:59], v27, s[sgprSrdC:sgprSrdC+3], 0, offen offset:0 // load C for beta calc
_v_add_lshl_u32 v27, v3, v4, 0x2                   // scaleToBpe: accumulate d0 lower and *= bpe into Cin addr
v_cndmask_b32 v27, -1, v27, s[56:57]               // LDD clip if OOB. offset
/* (d1,vc1,d0,vc0)=(2,0,0,0) */
_v_add_co_u32 v1, vcc, v1, 32                      // coord1.1: coord1Vgpr += d1*sg1*VW + vc1

/* Fix for UseInitialStridesCD, emitAddressSetupCode */
s_mul_i32 s52, s[sgprStrideC1J], 32                // scale stride
_v_add_u32 v2, v2, s52                             // ROWINC- Move cinRowPtr to next row
s_mul_i32 s52, s[sgprStrideD1J], 32                // scale stride
_v_add_u32 v3, v3, s52                             // Move coutRowPtr to next row
v_cmp_lt_u32 s[52:53], v0, s[sgprSizeI]            // coord0 < size0
v_cmp_lt_u32 s[56:57], v1, s[sgprSizeJ]            // coord1 < size1
s_and_b64 s[56:57], s[52:53], s[56:57]             // in0 && in1
_v_add_lshl_u32 v47, v2, v0, 0x2                   // scaleToBpe: accumulate d0 lower and *= bpe into Cin addr
v_cndmask_b32 v47, -1, v47, s[56:57]               // LDC clip if OOB. offset
_buffer_load_b128 v[64:67], v47, s[sgprSrdC:sgprSrdC+3], 0, offen offset:0 // load C for beta calc
_v_add_lshl_u32 v47, v3, v0, 0x2                   // scaleToBpe: accumulate d0 lower and *= bpe into Cin addr
v_cndmask_b32 v47, -1, v47, s[56:57]               // LDD clip if OOB. offset
/* (d1,vc1,d0,vc0)=(2,0,1,0) */
_v_add_co_u32 v4, vcc, v0, 32                      // coord0.1: coord0 += d0*sg0*VW + vc0
v_cmp_lt_u32 s[52:53], v4, s[sgprSizeI]            // coord0 < size0
v_cmp_lt_u32 s[56:57], v1, s[sgprSizeJ]            // coord1 < size1
s_and_b64 s[56:57], s[52:53], s[56:57]             // in0 && in1
_v_add_lshl_u32 v72, v2, v4, 0x2                   // scaleToBpe: accumulate d0 lower and *= bpe into Cin addr
v_cndmask_b32 v72, -1, v72, s[56:57]               // LDC clip if OOB. offset
_buffer_load_b128 v[76:79], v72, s[sgprSrdC:sgprSrdC+3], 0, offen offset:0 // load C for beta calc
_v_add_lshl_u32 v72, v3, v4, 0x2                   // scaleToBpe: accumulate d0 lower and *= bpe into Cin addr
v_cndmask_b32 v72, -1, v72, s[56:57]               // LDD clip if OOB. offset
/* (d1,vc1,d0,vc0)=(2,0,2,0) */
_v_add_co_u32 v4, vcc, v0, 64                      // coord0.1: coord0 += d0*sg0*VW + vc0
v_cmp_lt_u32 s[52:53], v4, s[sgprSizeI]            // coord0 < size0
v_cmp_lt_u32 s[56:57], v1, s[sgprSizeJ]            // coord1 < size1
s_and_b64 s[56:57], s[52:53], s[56:57]             // in0 && in1
_v_add_lshl_u32 v73, v2, v4, 0x2                   // scaleToBpe: accumulate d0 lower and *= bpe into Cin addr
v_cndmask_b32 v73, -1, v73, s[56:57]               // LDC clip if OOB. offset
_buffer_load_b128 v[84:87], v73, s[sgprSrdC:sgprSrdC+3], 0, offen offset:0 // load C for beta calc
_v_add_lshl_u32 v73, v3, v4, 0x2                   // scaleToBpe: accumulate d0 lower and *= bpe into Cin addr
v_cndmask_b32 v73, -1, v73, s[56:57]               // LDD clip if OOB. offset
v_accvgpr_read_b32 v[vgprValuC+12], acc0 // copy acc to vreg[0]
v_accvgpr_read_b32 v[vgprValuC+13], acc1 // copy acc to vreg[1]
v_accvgpr_read_b32 v[vgprValuC+14], acc2 // copy acc to vreg[2]
v_accvgpr_read_b32 v[vgprValuC+15], acc3 // copy acc to vreg[3]
v_accvgpr_read_b32 v[vgprValuC+20], acc4 // copy acc to vreg[4]
v_accvgpr_read_b32 v[vgprValuC+21], acc5 // copy acc to vreg[5]
v_accvgpr_read_b32 v[vgprValuC+22], acc6 // copy acc to vreg[6]
v_accvgpr_read_b32 v[vgprValuC+23], acc7 // copy acc to vreg[7]
v_accvgpr_read_b32 v[vgprValuC+32], acc8 // copy acc to vreg[8]
v_accvgpr_read_b32 v[vgprValuC+33], acc9 // copy acc to vreg[9]
v_accvgpr_read_b32 v[vgprValuC+34], acc10 // copy acc to vreg[10]
v_accvgpr_read_b32 v[vgprValuC+35], acc11 // copy acc to vreg[11]
v_accvgpr_read_b32 v[vgprValuC+40], acc12 // copy acc to vreg[12]
v_accvgpr_read_b32 v[vgprValuC+41], acc13 // copy acc to vreg[13]
v_accvgpr_read_b32 v[vgprValuC+42], acc14 // copy acc to vreg[14]
v_accvgpr_read_b32 v[vgprValuC+43], acc15 // copy acc to vreg[15]
v_accvgpr_read_b32 v[vgprValuC+52], acc16 // copy acc to vreg[16]
v_accvgpr_read_b32 v[vgprValuC+53], acc17 // copy acc to vreg[17]
v_accvgpr_read_b32 v[vgprValuC+54], acc18 // copy acc to vreg[18]
v_accvgpr_read_b32 v[vgprValuC+55], acc19 // copy acc to vreg[19]
v_accvgpr_read_b32 v[vgprValuC+60], acc20 // copy acc to vreg[20]
v_accvgpr_read_b32 v[vgprValuC+61], acc21 // copy acc to vreg[21]
v_accvgpr_read_b32 v[vgprValuC+62], acc22 // copy acc to vreg[22]
v_accvgpr_read_b32 v[vgprValuC+63], acc23 // copy acc to vreg[23]
v_accvgpr_read_b32 v[vgprValuC+68], acc24 // copy acc to vreg[24]
v_accvgpr_read_b32 v[vgprValuC+69], acc25 // copy acc to vreg[25]
v_accvgpr_read_b32 v[vgprValuC+70], acc26 // copy acc to vreg[26]
v_accvgpr_read_b32 v[vgprValuC+71], acc27 // copy acc to vreg[27]
v_accvgpr_read_b32 v[vgprValuC+80], acc28 // copy acc to vreg[28]
v_accvgpr_read_b32 v[vgprValuC+81], acc29 // copy acc to vreg[29]
v_accvgpr_read_b32 v[vgprValuC+82], acc30 // copy acc to vreg[30]
v_accvgpr_read_b32 v[vgprValuC+83], acc31 // copy acc to vreg[31]
v_accvgpr_read_b32 v[vgprValuC+88], acc32 // copy acc to vreg[32]
v_accvgpr_read_b32 v[vgprValuC+89], acc33 // copy acc to vreg[33]
v_accvgpr_read_b32 v[vgprValuC+90], acc34 // copy acc to vreg[34]
v_accvgpr_read_b32 v[vgprValuC+91], acc35 // copy acc to vreg[35]
s_nop 1                                            // 2 wait states required before reading vgpr

/* rC *= alpha batchElements=[(0, 0, 0, 0), (0, 1, 0, 0), (0, 2, 0, 0), (1, 0, 0, 0), (1, 1, 0, 0), (1, 2, 0, 0), (2, 0, 0, 0), (2, 1, 0, 0), (2, 2, 0, 0)] */
v_mul_lo_u32 v[vgprValuC+12], s[sgprAlpha], v[vgprValuC+12] // *= alpha
v_mul_lo_u32 v[vgprValuC+13], s[sgprAlpha], v[vgprValuC+13] // *= alpha
	;; [unrolled: 1-line block ×36, first 2 shown]
s_waitcnt vmcnt(0)                                 // wait C

/* apply mask, calc new C and issue writes */
v_mul_lo_u32 v8, s[sgprBeta], v8                   // C = C*beta
_v_add_u32 v[vgprValuC+12], v8, v[vgprValuC+12]    // finalSum = sum*alpha + C*beta
v_mul_lo_u32 v9, s[sgprBeta], v9                   // C = C*beta
_v_add_u32 v[vgprValuC+13], v9, v[vgprValuC+13]    // finalSum = sum*alpha + C*beta
v_mul_lo_u32 v10, s[sgprBeta], v10                 // C = C*beta
_v_add_u32 v[vgprValuC+14], v10, v[vgprValuC+14]   // finalSum = sum*alpha + C*beta
v_mul_lo_u32 v11, s[sgprBeta], v11                 // C = C*beta
_v_add_u32 v[vgprValuC+15], v11, v[vgprValuC+15]   // finalSum = sum*alpha + C*beta
_buffer_store_b128 v[12:15], v6, s[sgprSrdD:sgprSrdD+3], 0, offen, offset:0 // store D
v_mul_lo_u32 v16, s[sgprBeta], v16                 // C = C*beta
_v_add_u32 v[vgprValuC+20], v16, v[vgprValuC+20]   // finalSum = sum*alpha + C*beta
v_mul_lo_u32 v17, s[sgprBeta], v17                 // C = C*beta
_v_add_u32 v[vgprValuC+21], v17, v[vgprValuC+21]   // finalSum = sum*alpha + C*beta
v_mul_lo_u32 v18, s[sgprBeta], v18                 // C = C*beta
_v_add_u32 v[vgprValuC+22], v18, v[vgprValuC+22]   // finalSum = sum*alpha + C*beta
v_mul_lo_u32 v19, s[sgprBeta], v19                 // C = C*beta
_v_add_u32 v[vgprValuC+23], v19, v[vgprValuC+23]   // finalSum = sum*alpha + C*beta
_buffer_store_b128 v[20:23], v7, s[sgprSrdD:sgprSrdD+3], 0, offen, offset:0 // store D
v_mul_lo_u32 v28, s[sgprBeta], v28                 // C = C*beta
_v_add_u32 v[vgprValuC+32], v28, v[vgprValuC+32]   // finalSum = sum*alpha + C*beta
v_mul_lo_u32 v29, s[sgprBeta], v29                 // C = C*beta
_v_add_u32 v[vgprValuC+33], v29, v[vgprValuC+33]   // finalSum = sum*alpha + C*beta
	;; [unrolled: 9-line block ×8, first 2 shown]
v_mul_lo_u32 v86, s[sgprBeta], v86                 // C = C*beta
_v_add_u32 v[vgprValuC+90], v86, v[vgprValuC+90]   // finalSum = sum*alpha + C*beta
v_mul_lo_u32 v87, s[sgprBeta], v87                 // C = C*beta
_v_add_u32 v[vgprValuC+91], v87, v[vgprValuC+91]   // finalSum = sum*alpha + C*beta
_buffer_store_b128 v[88:91], v73, s[sgprSrdD:sgprSrdD+3], 0, offen, offset:0 // store D
s_nop 0                                            // 1 wait state required when next inst writes vgprs held by previous dwordx4 store inst
s_branch label_GW_End_266                          // jump to end
label_GW_End_266:

label_0271:  /// KernelEnd
s_endpgm                                           // Kernel End

